;; amdgpu-corpus repo=ROCm/rocBLAS kind=compiled arch=gfx1100 opt=O3
	.text
	.amdgcn_target "amdgcn-amd-amdhsa--gfx1100"
	.amdhsa_code_object_version 6
	.section	.text._ZL34rocblas_ger_double_buffered_kernelILb0ELi128ELi8ELi8Ef24rocblas_internal_val_ptrIfEPKfPfEvbiiT4_lT5_lllS6_lllT6_lmli,"axG",@progbits,_ZL34rocblas_ger_double_buffered_kernelILb0ELi128ELi8ELi8Ef24rocblas_internal_val_ptrIfEPKfPfEvbiiT4_lT5_lllS6_lllT6_lmli,comdat
	.globl	_ZL34rocblas_ger_double_buffered_kernelILb0ELi128ELi8ELi8Ef24rocblas_internal_val_ptrIfEPKfPfEvbiiT4_lT5_lllS6_lllT6_lmli ; -- Begin function _ZL34rocblas_ger_double_buffered_kernelILb0ELi128ELi8ELi8Ef24rocblas_internal_val_ptrIfEPKfPfEvbiiT4_lT5_lllS6_lllT6_lmli
	.p2align	8
	.type	_ZL34rocblas_ger_double_buffered_kernelILb0ELi128ELi8ELi8Ef24rocblas_internal_val_ptrIfEPKfPfEvbiiT4_lT5_lllS6_lllT6_lmli,@function
_ZL34rocblas_ger_double_buffered_kernelILb0ELi128ELi8ELi8Ef24rocblas_internal_val_ptrIfEPKfPfEvbiiT4_lT5_lllS6_lllT6_lmli: ; @_ZL34rocblas_ger_double_buffered_kernelILb0ELi128ELi8ELi8Ef24rocblas_internal_val_ptrIfEPKfPfEvbiiT4_lT5_lllS6_lllT6_lmli
; %bb.0:
	s_clause 0x1
	s_load_b32 s2, s[0:1], 0x0
	s_load_b128 s[4:7], s[0:1], 0x10
	s_waitcnt lgkmcnt(0)
	s_bitcmp0_b32 s2, 0
	s_mov_b32 s2, 0
	s_cbranch_scc0 .LBB0_2
; %bb.1:
	s_mul_i32 s3, s15, s7
	s_mul_hi_u32 s7, s15, s6
	s_mul_i32 s6, s15, s6
	s_add_i32 s7, s7, s3
	s_delay_alu instid0(SALU_CYCLE_1) | instskip(NEXT) | instid1(SALU_CYCLE_1)
	s_lshl_b64 s[6:7], s[6:7], 2
	s_add_u32 s6, s4, s6
	s_addc_u32 s7, s5, s7
	s_load_b32 s12, s[6:7], 0x0
	s_and_not1_b32 vcc_lo, exec_lo, s2
	s_cbranch_vccz .LBB0_3
	s_branch .LBB0_4
.LBB0_2:
                                        ; implicit-def: $sgpr12
.LBB0_3:
	s_waitcnt lgkmcnt(0)
	s_mov_b32 s12, s4
.LBB0_4:
	s_waitcnt lgkmcnt(0)
	v_cmp_eq_f32_e64 s2, s12, 0
	s_delay_alu instid0(VALU_DEP_1)
	s_and_b32 vcc_lo, exec_lo, s2
	s_cbranch_vccnz .LBB0_6
; %bb.5:
	s_clause 0x2
	s_load_b64 s[24:25], s[0:1], 0x78
	s_load_b256 s[16:23], s[0:1], 0x58
	s_load_b256 s[4:11], s[0:1], 0x38
	v_and_b32_e32 v1, 0x3ff, v0
	v_bfe_u32 v0, v0, 10, 10
	s_clause 0x1
	s_load_b64 s[26:27], s[0:1], 0x20
	s_load_b128 s[0:3], s[0:1], 0x28
	v_and_b32_e32 v9, 63, v1
	v_lshl_add_u32 v0, v0, 7, v1
	s_delay_alu instid0(VALU_DEP_2) | instskip(NEXT) | instid1(VALU_DEP_2)
	v_or_b32_e32 v10, 64, v9
	v_lshrrev_b32_e32 v34, 3, v0
	s_delay_alu instid0(VALU_DEP_1)
	v_and_b32_e32 v31, 0x7ff8, v34
	s_waitcnt lgkmcnt(0)
	s_mul_i32 s25, s15, s25
	s_mul_hi_u32 s28, s15, s24
	s_mul_i32 s24, s15, s24
	s_add_i32 s25, s28, s25
	s_mul_i32 s17, s15, s17
	s_lshl_b64 s[24:25], s[24:25], 2
	s_mul_hi_u32 s28, s15, s16
	s_add_u32 s24, s18, s24
	s_addc_u32 s25, s19, s25
	s_lshl_b64 s[18:19], s[20:21], 2
	s_mul_i32 s16, s15, s16
	s_add_u32 s21, s24, s18
	s_addc_u32 s24, s25, s19
	s_add_i32 s17, s28, s17
	s_mul_i32 s20, s15, s5
	s_lshl_b64 s[16:17], s[16:17], 2
	s_mul_hi_u32 s19, s15, s4
	s_add_u32 s5, s6, s16
	s_mul_i32 s18, s15, s4
	s_addc_u32 s4, s7, s17
	s_add_i32 s19, s19, s20
	v_mad_u64_u32 v[0:1], null, v31, s22, 0
	v_mad_u64_u32 v[2:3], null, v9, s2, 0
	s_lshl_b64 s[6:7], s[18:19], 2
	v_mad_u64_u32 v[4:5], null, v10, s2, 0
	s_add_u32 s6, s26, s6
	s_addc_u32 s7, s27, s7
	s_lshl_b64 s[0:1], s[0:1], 2
	s_delay_alu instid0(VALU_DEP_2)
	v_mad_u64_u32 v[6:7], null, v31, s23, v[1:2]
	s_add_u32 s15, s6, s0
	s_addc_u32 s16, s7, s1
	s_lshl_b32 s0, s13, 7
	v_mad_u64_u32 v[7:8], null, v9, s3, v[3:4]
	s_ashr_i32 s1, s0, 31
	s_delay_alu instid0(VALU_DEP_2)
	v_mov_b32_e32 v1, v6
	s_lshl_b64 s[6:7], s[0:1], 2
	v_mov_b32_e32 v3, v5
	s_add_u32 s13, s21, s6
	s_addc_u32 s17, s24, s7
	s_lshl_b32 s14, s14, 7
	v_lshlrev_b64 v[0:1], 2, v[0:1]
	s_mul_i32 s6, s14, s23
	s_mul_hi_u32 s7, s14, s22
	s_ashr_i32 s19, s14, 31
	s_add_i32 s7, s7, s6
	s_mul_i32 s20, s19, s22
	s_mul_i32 s6, s14, s22
	s_add_i32 s7, s7, s20
	v_mad_u64_u32 v[5:6], null, v10, s3, v[3:4]
	v_lshlrev_b32_e32 v6, 2, v9
	s_lshl_b64 s[6:7], s[6:7], 2
	v_mov_b32_e32 v3, v7
	s_mul_i32 s18, s0, s3
	s_mul_hi_u32 s20, s0, s2
	s_add_u32 s6, s13, s6
	s_mul_i32 s1, s1, s2
	s_addc_u32 s7, s17, s7
	s_add_i32 s13, s20, s18
	v_add_co_u32 v7, vcc_lo, s6, v0
	s_add_i32 s1, s13, s1
	s_mul_i32 s0, s0, s2
	v_lshlrev_b64 v[2:3], 2, v[2:3]
	v_add_co_ci_u32_e32 v8, vcc_lo, s7, v1, vcc_lo
	s_lshl_b64 s[0:1], s[0:1], 2
	v_lshlrev_b64 v[0:1], 2, v[4:5]
	v_add_co_u32 v4, vcc_lo, v7, v6
	s_add_u32 s0, s15, s0
	v_add_co_ci_u32_e32 v5, vcc_lo, 0, v8, vcc_lo
	s_addc_u32 s1, s16, s1
	v_add_co_u32 v2, vcc_lo, s0, v2
	v_add_co_ci_u32_e32 v3, vcc_lo, s1, v3, vcc_lo
	v_add_co_u32 v0, vcc_lo, s0, v0
	v_mad_u64_u32 v[6:7], null, s22, 12, v[4:5]
	v_add_co_ci_u32_e32 v1, vcc_lo, s1, v1, vcc_lo
	s_clause 0x1
	global_load_b32 v38, v[2:3], off
	global_load_b32 v39, v[0:1], off
	v_mad_u64_u32 v[1:2], null, s22, 20, v[4:5]
	v_mov_b32_e32 v0, v7
	v_mad_u64_u32 v[10:11], null, s22, 24, v[4:5]
	v_mad_u64_u32 v[12:13], null, s22, 28, v[4:5]
	s_mul_i32 s2, s14, s11
	s_delay_alu instid0(VALU_DEP_3)
	v_mad_u64_u32 v[7:8], null, s23, 12, v[0:1]
	v_mov_b32_e32 v0, v2
	v_or_b32_e32 v29, 2, v31
	v_or_b32_e32 v30, 3, v31
	s_mul_hi_u32 s3, s14, s10
	s_mul_i32 s19, s19, s10
	v_mad_u64_u32 v[2:3], null, s23, 20, v[0:1]
	v_mov_b32_e32 v0, v11
	s_add_i32 s2, s3, s2
	global_load_b32 v40, v[4:5], off
	s_add_i32 s1, s2, s19
	s_lshl_b64 s[2:3], s[22:23], 2
	v_mad_u64_u32 v[16:17], null, s23, 24, v[0:1]
	v_mad_u64_u32 v[17:18], null, v31, s10, 0
	v_mov_b32_e32 v0, v13
	v_add_co_u32 v8, vcc_lo, v4, s2
	v_add_co_ci_u32_e32 v9, vcc_lo, s3, v5, vcc_lo
	s_delay_alu instid0(VALU_DEP_3)
	v_mad_u64_u32 v[21:22], null, s23, 28, v[0:1]
	v_mov_b32_e32 v0, v18
	s_lshl_b64 s[2:3], s[22:23], 3
	s_clause 0x1
	global_load_b32 v3, v[6:7], off
	global_load_b32 v41, v[1:2], off
	global_load_b32 v42, v[8:9], off offset:256
	v_mad_u64_u32 v[22:23], null, v31, s11, v[0:1]
	v_mov_b32_e32 v11, v16
	v_or_b32_e32 v16, 1, v31
	s_clause 0x1
	global_load_b32 v43, v[8:9], off
	global_load_b32 v44, v[4:5], off offset:256
	v_or_b32_e32 v36, 5, v31
	v_add_co_u32 v14, vcc_lo, v4, s2
	v_mov_b32_e32 v18, v22
	v_mad_u64_u32 v[23:24], null, v16, s10, 0
	v_mov_b32_e32 v13, v21
	v_mad_u64_u32 v[21:22], null, v29, s10, 0
	v_add_co_ci_u32_e32 v15, vcc_lo, s3, v5, vcc_lo
	s_clause 0x1
	global_load_b32 v45, v[14:15], off
	global_load_b32 v46, v[14:15], off offset:256
	v_mov_b32_e32 v0, v24
	v_or_b32_e32 v37, 6, v31
	s_lshl_b64 s[2:3], s[22:23], 4
	s_mul_i32 s0, s14, s10
	v_add_co_u32 v19, vcc_lo, v4, s2
	v_mad_u64_u32 v[24:25], null, v16, s11, v[0:1]
	v_mov_b32_e32 v0, v22
	v_mad_u64_u32 v[25:26], null, v30, s10, 0
	v_lshlrev_b64 v[16:17], 2, v[17:18]
	v_or_b32_e32 v18, 4, v31
	s_delay_alu instid0(VALU_DEP_4)
	v_mad_u64_u32 v[27:28], null, v29, s11, v[0:1]
	v_add_co_ci_u32_e32 v20, vcc_lo, s3, v5, vcc_lo
	v_mov_b32_e32 v0, v26
	s_lshl_b64 s[2:3], s[8:9], 2
	v_lshlrev_b64 v[23:24], 2, v[23:24]
	s_add_u32 s2, s5, s2
	s_delay_alu instid0(VALU_DEP_4)
	v_mov_b32_e32 v22, v27
	v_mad_u64_u32 v[26:27], null, v30, s11, v[0:1]
	v_mad_u64_u32 v[27:28], null, v18, s10, 0
	;; [unrolled: 1-line block ×3, first 2 shown]
	s_addc_u32 s3, s4, s3
	s_lshl_b64 s[0:1], s[0:1], 2
	v_lshlrev_b64 v[21:22], 2, v[21:22]
	s_add_u32 s0, s2, s0
	s_delay_alu instid0(VALU_DEP_3) | instskip(SKIP_3) | instid1(VALU_DEP_3)
	v_mov_b32_e32 v0, v28
	s_addc_u32 s1, s3, s1
	v_add_co_u32 v16, vcc_lo, s0, v16
	v_add_co_ci_u32_e32 v17, vcc_lo, s1, v17, vcc_lo
	v_mad_u64_u32 v[31:32], null, v18, s11, v[0:1]
	v_mov_b32_e32 v0, v30
	v_mad_u64_u32 v[32:33], null, v37, s10, 0
	v_or_b32_e32 v18, 7, v34
	v_add_co_u32 v23, vcc_lo, s0, v23
	s_delay_alu instid0(VALU_DEP_4) | instskip(NEXT) | instid1(VALU_DEP_3)
	v_mad_u64_u32 v[34:35], null, v36, s11, v[0:1]
	v_mad_u64_u32 v[35:36], null, v18, s10, 0
	v_mov_b32_e32 v0, v33
	v_mov_b32_e32 v28, v31
	v_lshlrev_b64 v[25:26], 2, v[25:26]
	v_add_co_ci_u32_e32 v24, vcc_lo, s1, v24, vcc_lo
	v_mov_b32_e32 v30, v34
	v_mad_u64_u32 v[33:34], null, v37, s11, v[0:1]
	v_mov_b32_e32 v0, v36
	v_add_co_u32 v21, vcc_lo, s0, v21
	v_lshlrev_b64 v[27:28], 2, v[27:28]
	v_add_co_ci_u32_e32 v22, vcc_lo, s1, v22, vcc_lo
	v_add_co_u32 v25, vcc_lo, s0, v25
	v_mad_u64_u32 v[36:37], null, v18, s11, v[0:1]
	v_add_co_ci_u32_e32 v26, vcc_lo, s1, v26, vcc_lo
	v_add_co_u32 v27, vcc_lo, s0, v27
	v_lshlrev_b64 v[29:30], 2, v[29:30]
	v_add_co_ci_u32_e32 v28, vcc_lo, s1, v28, vcc_lo
	s_clause 0x1
	global_load_b32 v31, v[19:20], off
	global_load_b32 v47, v[19:20], off offset:256
	s_clause 0x4
	global_load_b32 v0, v[16:17], off
	global_load_b32 v18, v[23:24], off
	;; [unrolled: 1-line block ×5, first 2 shown]
	v_lshlrev_b64 v[16:17], 2, v[32:33]
	v_add_co_u32 v21, vcc_lo, s0, v29
	v_lshlrev_b64 v[23:24], 2, v[35:36]
	v_add_co_ci_u32_e32 v22, vcc_lo, s1, v30, vcc_lo
	s_delay_alu instid0(VALU_DEP_4) | instskip(SKIP_1) | instid1(VALU_DEP_4)
	v_add_co_u32 v16, vcc_lo, s0, v16
	v_add_co_ci_u32_e32 v17, vcc_lo, s1, v17, vcc_lo
	v_add_co_u32 v23, vcc_lo, s0, v23
	v_add_co_ci_u32_e32 v24, vcc_lo, s1, v24, vcc_lo
	s_clause 0x1
	global_load_b32 v27, v[10:11], off
	global_load_b32 v28, v[12:13], off
	s_clause 0x2
	global_load_b32 v21, v[21:22], off
	global_load_b32 v16, v[16:17], off
	;; [unrolled: 1-line block ×3, first 2 shown]
	s_clause 0x3
	global_load_b32 v22, v[6:7], off offset:256
	global_load_b32 v23, v[1:2], off offset:256
	;; [unrolled: 1-line block ×4, first 2 shown]
	s_waitcnt vmcnt(25)
	v_mul_f32_e32 v30, s12, v38
	s_waitcnt vmcnt(24)
	v_mul_f32_e32 v32, s12, v39
	s_waitcnt vmcnt(13)
	s_delay_alu instid0(VALU_DEP_2)
	v_fmac_f32_e32 v40, v30, v0
	s_waitcnt vmcnt(12)
	v_fmac_f32_e32 v43, v30, v18
	s_waitcnt vmcnt(11)
	v_fmac_f32_e32 v45, v30, v34
	s_waitcnt vmcnt(10)
	v_fmac_f32_e32 v3, v30, v25
	s_waitcnt vmcnt(9)
	v_fmac_f32_e32 v31, v30, v26
	global_store_b32 v[4:5], v40, off
	s_clause 0x1
	global_store_b32 v[8:9], v43, off
	global_store_b32 v[14:15], v45, off
	s_waitcnt vmcnt(6)
	v_fmac_f32_e32 v41, v30, v21
	s_waitcnt vmcnt(5)
	v_fmac_f32_e32 v27, v30, v16
	;; [unrolled: 2-line block ×3, first 2 shown]
	v_fmac_f32_e32 v44, v32, v0
	v_fmac_f32_e32 v42, v32, v18
	;; [unrolled: 1-line block ×4, first 2 shown]
	s_waitcnt vmcnt(3)
	v_fmac_f32_e32 v22, v32, v25
	s_waitcnt vmcnt(2)
	v_fmac_f32_e32 v23, v32, v21
	;; [unrolled: 2-line block ×4, first 2 shown]
	s_clause 0x5
	global_store_b32 v[6:7], v3, off
	global_store_b32 v[19:20], v31, off
	;; [unrolled: 1-line block ×5, first 2 shown]
	global_store_b32 v[4:5], v44, off offset:256
	s_clause 0x6
	global_store_b32 v[8:9], v42, off offset:256
	global_store_b32 v[14:15], v46, off offset:256
	;; [unrolled: 1-line block ×7, first 2 shown]
.LBB0_6:
	s_nop 0
	s_sendmsg sendmsg(MSG_DEALLOC_VGPRS)
	s_endpgm
	.section	.rodata,"a",@progbits
	.p2align	6, 0x0
	.amdhsa_kernel _ZL34rocblas_ger_double_buffered_kernelILb0ELi128ELi8ELi8Ef24rocblas_internal_val_ptrIfEPKfPfEvbiiT4_lT5_lllS6_lllT6_lmli
		.amdhsa_group_segment_fixed_size 0
		.amdhsa_private_segment_fixed_size 0
		.amdhsa_kernarg_size 132
		.amdhsa_user_sgpr_count 13
		.amdhsa_user_sgpr_dispatch_ptr 0
		.amdhsa_user_sgpr_queue_ptr 0
		.amdhsa_user_sgpr_kernarg_segment_ptr 1
		.amdhsa_user_sgpr_dispatch_id 0
		.amdhsa_user_sgpr_private_segment_size 0
		.amdhsa_wavefront_size32 1
		.amdhsa_uses_dynamic_stack 0
		.amdhsa_enable_private_segment 0
		.amdhsa_system_sgpr_workgroup_id_x 1
		.amdhsa_system_sgpr_workgroup_id_y 1
		.amdhsa_system_sgpr_workgroup_id_z 1
		.amdhsa_system_sgpr_workgroup_info 0
		.amdhsa_system_vgpr_workitem_id 1
		.amdhsa_next_free_vgpr 48
		.amdhsa_next_free_sgpr 29
		.amdhsa_reserve_vcc 1
		.amdhsa_float_round_mode_32 0
		.amdhsa_float_round_mode_16_64 0
		.amdhsa_float_denorm_mode_32 3
		.amdhsa_float_denorm_mode_16_64 3
		.amdhsa_dx10_clamp 1
		.amdhsa_ieee_mode 1
		.amdhsa_fp16_overflow 0
		.amdhsa_workgroup_processor_mode 1
		.amdhsa_memory_ordered 1
		.amdhsa_forward_progress 0
		.amdhsa_shared_vgpr_count 0
		.amdhsa_exception_fp_ieee_invalid_op 0
		.amdhsa_exception_fp_denorm_src 0
		.amdhsa_exception_fp_ieee_div_zero 0
		.amdhsa_exception_fp_ieee_overflow 0
		.amdhsa_exception_fp_ieee_underflow 0
		.amdhsa_exception_fp_ieee_inexact 0
		.amdhsa_exception_int_div_zero 0
	.end_amdhsa_kernel
	.section	.text._ZL34rocblas_ger_double_buffered_kernelILb0ELi128ELi8ELi8Ef24rocblas_internal_val_ptrIfEPKfPfEvbiiT4_lT5_lllS6_lllT6_lmli,"axG",@progbits,_ZL34rocblas_ger_double_buffered_kernelILb0ELi128ELi8ELi8Ef24rocblas_internal_val_ptrIfEPKfPfEvbiiT4_lT5_lllS6_lllT6_lmli,comdat
.Lfunc_end0:
	.size	_ZL34rocblas_ger_double_buffered_kernelILb0ELi128ELi8ELi8Ef24rocblas_internal_val_ptrIfEPKfPfEvbiiT4_lT5_lllS6_lllT6_lmli, .Lfunc_end0-_ZL34rocblas_ger_double_buffered_kernelILb0ELi128ELi8ELi8Ef24rocblas_internal_val_ptrIfEPKfPfEvbiiT4_lT5_lllS6_lllT6_lmli
                                        ; -- End function
	.section	.AMDGPU.csdata,"",@progbits
; Kernel info:
; codeLenInByte = 1680
; NumSgprs: 31
; NumVgprs: 48
; ScratchSize: 0
; MemoryBound: 0
; FloatMode: 240
; IeeeMode: 1
; LDSByteSize: 0 bytes/workgroup (compile time only)
; SGPRBlocks: 3
; VGPRBlocks: 5
; NumSGPRsForWavesPerEU: 31
; NumVGPRsForWavesPerEU: 48
; Occupancy: 16
; WaveLimiterHint : 0
; COMPUTE_PGM_RSRC2:SCRATCH_EN: 0
; COMPUTE_PGM_RSRC2:USER_SGPR: 13
; COMPUTE_PGM_RSRC2:TRAP_HANDLER: 0
; COMPUTE_PGM_RSRC2:TGID_X_EN: 1
; COMPUTE_PGM_RSRC2:TGID_Y_EN: 1
; COMPUTE_PGM_RSRC2:TGID_Z_EN: 1
; COMPUTE_PGM_RSRC2:TIDIG_COMP_CNT: 1
	.section	.text._ZL26rocblas_sger_gfx942_kernelILi256EfPKfS1_PfEviiT1_lT2_lllS4_lllT3_lll,"axG",@progbits,_ZL26rocblas_sger_gfx942_kernelILi256EfPKfS1_PfEviiT1_lT2_lllS4_lllT3_lll,comdat
	.globl	_ZL26rocblas_sger_gfx942_kernelILi256EfPKfS1_PfEviiT1_lT2_lllS4_lllT3_lll ; -- Begin function _ZL26rocblas_sger_gfx942_kernelILi256EfPKfS1_PfEviiT1_lT2_lllS4_lllT3_lll
	.p2align	8
	.type	_ZL26rocblas_sger_gfx942_kernelILi256EfPKfS1_PfEviiT1_lT2_lllS4_lllT3_lll,@function
_ZL26rocblas_sger_gfx942_kernelILi256EfPKfS1_PfEviiT1_lT2_lllS4_lllT3_lll: ; @_ZL26rocblas_sger_gfx942_kernelILi256EfPKfS1_PfEviiT1_lT2_lllS4_lllT3_lll
; %bb.0:
	s_endpgm
	.section	.rodata,"a",@progbits
	.p2align	6, 0x0
	.amdhsa_kernel _ZL26rocblas_sger_gfx942_kernelILi256EfPKfS1_PfEviiT1_lT2_lllS4_lllT3_lll
		.amdhsa_group_segment_fixed_size 0
		.amdhsa_private_segment_fixed_size 0
		.amdhsa_kernarg_size 120
		.amdhsa_user_sgpr_count 15
		.amdhsa_user_sgpr_dispatch_ptr 0
		.amdhsa_user_sgpr_queue_ptr 0
		.amdhsa_user_sgpr_kernarg_segment_ptr 1
		.amdhsa_user_sgpr_dispatch_id 0
		.amdhsa_user_sgpr_private_segment_size 0
		.amdhsa_wavefront_size32 1
		.amdhsa_uses_dynamic_stack 0
		.amdhsa_enable_private_segment 0
		.amdhsa_system_sgpr_workgroup_id_x 1
		.amdhsa_system_sgpr_workgroup_id_y 0
		.amdhsa_system_sgpr_workgroup_id_z 0
		.amdhsa_system_sgpr_workgroup_info 0
		.amdhsa_system_vgpr_workitem_id 0
		.amdhsa_next_free_vgpr 1
		.amdhsa_next_free_sgpr 1
		.amdhsa_reserve_vcc 0
		.amdhsa_float_round_mode_32 0
		.amdhsa_float_round_mode_16_64 0
		.amdhsa_float_denorm_mode_32 3
		.amdhsa_float_denorm_mode_16_64 3
		.amdhsa_dx10_clamp 1
		.amdhsa_ieee_mode 1
		.amdhsa_fp16_overflow 0
		.amdhsa_workgroup_processor_mode 1
		.amdhsa_memory_ordered 1
		.amdhsa_forward_progress 0
		.amdhsa_shared_vgpr_count 0
		.amdhsa_exception_fp_ieee_invalid_op 0
		.amdhsa_exception_fp_denorm_src 0
		.amdhsa_exception_fp_ieee_div_zero 0
		.amdhsa_exception_fp_ieee_overflow 0
		.amdhsa_exception_fp_ieee_underflow 0
		.amdhsa_exception_fp_ieee_inexact 0
		.amdhsa_exception_int_div_zero 0
	.end_amdhsa_kernel
	.section	.text._ZL26rocblas_sger_gfx942_kernelILi256EfPKfS1_PfEviiT1_lT2_lllS4_lllT3_lll,"axG",@progbits,_ZL26rocblas_sger_gfx942_kernelILi256EfPKfS1_PfEviiT1_lT2_lllS4_lllT3_lll,comdat
.Lfunc_end1:
	.size	_ZL26rocblas_sger_gfx942_kernelILi256EfPKfS1_PfEviiT1_lT2_lllS4_lllT3_lll, .Lfunc_end1-_ZL26rocblas_sger_gfx942_kernelILi256EfPKfS1_PfEviiT1_lT2_lllS4_lllT3_lll
                                        ; -- End function
	.section	.AMDGPU.csdata,"",@progbits
; Kernel info:
; codeLenInByte = 4
; NumSgprs: 0
; NumVgprs: 0
; ScratchSize: 0
; MemoryBound: 0
; FloatMode: 240
; IeeeMode: 1
; LDSByteSize: 0 bytes/workgroup (compile time only)
; SGPRBlocks: 0
; VGPRBlocks: 0
; NumSGPRsForWavesPerEU: 1
; NumVGPRsForWavesPerEU: 1
; Occupancy: 16
; WaveLimiterHint : 0
; COMPUTE_PGM_RSRC2:SCRATCH_EN: 0
; COMPUTE_PGM_RSRC2:USER_SGPR: 15
; COMPUTE_PGM_RSRC2:TRAP_HANDLER: 0
; COMPUTE_PGM_RSRC2:TGID_X_EN: 1
; COMPUTE_PGM_RSRC2:TGID_Y_EN: 0
; COMPUTE_PGM_RSRC2:TGID_Z_EN: 0
; COMPUTE_PGM_RSRC2:TIDIG_COMP_CNT: 0
	.section	.text._ZL26rocblas_sger_gfx942_kernelILi256EffPKfPfEviiT1_lT2_lllS4_lllT3_lll,"axG",@progbits,_ZL26rocblas_sger_gfx942_kernelILi256EffPKfPfEviiT1_lT2_lllS4_lllT3_lll,comdat
	.globl	_ZL26rocblas_sger_gfx942_kernelILi256EffPKfPfEviiT1_lT2_lllS4_lllT3_lll ; -- Begin function _ZL26rocblas_sger_gfx942_kernelILi256EffPKfPfEviiT1_lT2_lllS4_lllT3_lll
	.p2align	8
	.type	_ZL26rocblas_sger_gfx942_kernelILi256EffPKfPfEviiT1_lT2_lllS4_lllT3_lll,@function
_ZL26rocblas_sger_gfx942_kernelILi256EffPKfPfEviiT1_lT2_lllS4_lllT3_lll: ; @_ZL26rocblas_sger_gfx942_kernelILi256EffPKfPfEviiT1_lT2_lllS4_lllT3_lll
; %bb.0:
	s_endpgm
	.section	.rodata,"a",@progbits
	.p2align	6, 0x0
	.amdhsa_kernel _ZL26rocblas_sger_gfx942_kernelILi256EffPKfPfEviiT1_lT2_lllS4_lllT3_lll
		.amdhsa_group_segment_fixed_size 0
		.amdhsa_private_segment_fixed_size 0
		.amdhsa_kernarg_size 120
		.amdhsa_user_sgpr_count 15
		.amdhsa_user_sgpr_dispatch_ptr 0
		.amdhsa_user_sgpr_queue_ptr 0
		.amdhsa_user_sgpr_kernarg_segment_ptr 1
		.amdhsa_user_sgpr_dispatch_id 0
		.amdhsa_user_sgpr_private_segment_size 0
		.amdhsa_wavefront_size32 1
		.amdhsa_uses_dynamic_stack 0
		.amdhsa_enable_private_segment 0
		.amdhsa_system_sgpr_workgroup_id_x 1
		.amdhsa_system_sgpr_workgroup_id_y 0
		.amdhsa_system_sgpr_workgroup_id_z 0
		.amdhsa_system_sgpr_workgroup_info 0
		.amdhsa_system_vgpr_workitem_id 0
		.amdhsa_next_free_vgpr 1
		.amdhsa_next_free_sgpr 1
		.amdhsa_reserve_vcc 0
		.amdhsa_float_round_mode_32 0
		.amdhsa_float_round_mode_16_64 0
		.amdhsa_float_denorm_mode_32 3
		.amdhsa_float_denorm_mode_16_64 3
		.amdhsa_dx10_clamp 1
		.amdhsa_ieee_mode 1
		.amdhsa_fp16_overflow 0
		.amdhsa_workgroup_processor_mode 1
		.amdhsa_memory_ordered 1
		.amdhsa_forward_progress 0
		.amdhsa_shared_vgpr_count 0
		.amdhsa_exception_fp_ieee_invalid_op 0
		.amdhsa_exception_fp_denorm_src 0
		.amdhsa_exception_fp_ieee_div_zero 0
		.amdhsa_exception_fp_ieee_overflow 0
		.amdhsa_exception_fp_ieee_underflow 0
		.amdhsa_exception_fp_ieee_inexact 0
		.amdhsa_exception_int_div_zero 0
	.end_amdhsa_kernel
	.section	.text._ZL26rocblas_sger_gfx942_kernelILi256EffPKfPfEviiT1_lT2_lllS4_lllT3_lll,"axG",@progbits,_ZL26rocblas_sger_gfx942_kernelILi256EffPKfPfEviiT1_lT2_lllS4_lllT3_lll,comdat
.Lfunc_end2:
	.size	_ZL26rocblas_sger_gfx942_kernelILi256EffPKfPfEviiT1_lT2_lllS4_lllT3_lll, .Lfunc_end2-_ZL26rocblas_sger_gfx942_kernelILi256EffPKfPfEviiT1_lT2_lllS4_lllT3_lll
                                        ; -- End function
	.section	.AMDGPU.csdata,"",@progbits
; Kernel info:
; codeLenInByte = 4
; NumSgprs: 0
; NumVgprs: 0
; ScratchSize: 0
; MemoryBound: 0
; FloatMode: 240
; IeeeMode: 1
; LDSByteSize: 0 bytes/workgroup (compile time only)
; SGPRBlocks: 0
; VGPRBlocks: 0
; NumSGPRsForWavesPerEU: 1
; NumVGPRsForWavesPerEU: 1
; Occupancy: 16
; WaveLimiterHint : 0
; COMPUTE_PGM_RSRC2:SCRATCH_EN: 0
; COMPUTE_PGM_RSRC2:USER_SGPR: 15
; COMPUTE_PGM_RSRC2:TRAP_HANDLER: 0
; COMPUTE_PGM_RSRC2:TGID_X_EN: 1
; COMPUTE_PGM_RSRC2:TGID_Y_EN: 0
; COMPUTE_PGM_RSRC2:TGID_Z_EN: 0
; COMPUTE_PGM_RSRC2:TIDIG_COMP_CNT: 0
	.section	.text._ZL19rocblas_sger_kernelILi1024EfPKfS1_PfEviiT1_lT2_lllS4_lllT3_lmli,"axG",@progbits,_ZL19rocblas_sger_kernelILi1024EfPKfS1_PfEviiT1_lT2_lllS4_lllT3_lmli,comdat
	.globl	_ZL19rocblas_sger_kernelILi1024EfPKfS1_PfEviiT1_lT2_lllS4_lllT3_lmli ; -- Begin function _ZL19rocblas_sger_kernelILi1024EfPKfS1_PfEviiT1_lT2_lllS4_lllT3_lmli
	.p2align	8
	.type	_ZL19rocblas_sger_kernelILi1024EfPKfS1_PfEviiT1_lT2_lllS4_lllT3_lmli,@function
_ZL19rocblas_sger_kernelILi1024EfPKfS1_PfEviiT1_lT2_lllS4_lllT3_lmli: ; @_ZL19rocblas_sger_kernelILi1024EfPKfS1_PfEviiT1_lT2_lllS4_lllT3_lmli
; %bb.0:
	s_load_b128 s[4:7], s[0:1], 0x8
	s_waitcnt lgkmcnt(0)
	s_mul_i32 s2, s15, s7
	s_mul_hi_u32 s3, s15, s6
	s_delay_alu instid0(SALU_CYCLE_1) | instskip(SKIP_1) | instid1(SALU_CYCLE_1)
	s_add_i32 s3, s3, s2
	s_mul_i32 s2, s15, s6
	s_lshl_b64 s[2:3], s[2:3], 2
	s_delay_alu instid0(SALU_CYCLE_1) | instskip(SKIP_4) | instid1(VALU_DEP_1)
	s_add_u32 s2, s4, s2
	s_addc_u32 s3, s5, s3
	s_load_b32 s2, s[2:3], 0x0
	s_waitcnt lgkmcnt(0)
	v_cmp_eq_f32_e64 s3, s2, 0
	s_and_b32 vcc_lo, exec_lo, s3
	s_cbranch_vccnz .LBB3_4
; %bb.1:
	s_load_b32 s12, s[0:1], 0x0
	s_waitcnt lgkmcnt(0)
	v_cmp_gt_i32_e32 vcc_lo, s12, v0
	s_and_saveexec_b32 s3, vcc_lo
	s_cbranch_execz .LBB3_4
; %bb.2:
	s_clause 0x4
	s_load_b256 s[16:23], s[0:1], 0x50
	s_load_b64 s[28:29], s[0:1], 0x70
	s_load_b256 s[4:11], s[0:1], 0x30
	s_load_b128 s[24:27], s[0:1], 0x20
	s_load_b64 s[0:1], s[0:1], 0x18
	s_waitcnt lgkmcnt(0)
	s_mul_i32 s3, s15, s17
	s_mul_hi_u32 s13, s15, s16
	s_mul_i32 s16, s15, s16
	s_add_i32 s17, s13, s3
	s_mul_i32 s29, s15, s29
	s_lshl_b64 s[16:17], s[16:17], 2
	s_mul_hi_u32 s30, s15, s28
	s_add_u32 s13, s6, s16
	s_addc_u32 s16, s7, s17
	s_lshl_b64 s[6:7], s[8:9], 2
	s_mul_i32 s28, s15, s28
	s_add_u32 s13, s13, s6
	s_addc_u32 s16, s16, s7
	s_add_i32 s29, s30, s29
	s_mul_i32 s3, s14, s23
	s_lshl_b64 s[8:9], s[28:29], 2
	s_mul_hi_u32 s17, s14, s22
	s_add_u32 s7, s18, s8
	s_addc_u32 s18, s19, s9
	s_lshl_b64 s[8:9], s[20:21], 2
	s_mul_i32 s6, s14, s22
	s_add_u32 s8, s7, s8
	s_addc_u32 s9, s18, s9
	s_ashr_i32 s18, s14, 31
	s_add_i32 s3, s17, s3
	s_mul_i32 s7, s18, s22
	s_mul_i32 s11, s14, s11
	s_add_i32 s7, s3, s7
	s_mul_hi_u32 s17, s14, s10
	s_lshl_b64 s[6:7], s[6:7], 2
	v_mad_u64_u32 v[1:2], null, s26, v0, 0
	s_add_u32 s3, s6, s8
	s_mul_i32 s18, s18, s10
	s_addc_u32 s8, s7, s9
	s_add_i32 s7, s17, s11
	s_mul_i32 s6, s14, s10
	s_add_i32 s7, s7, s18
	s_delay_alu instid0(VALU_DEP_1)
	v_mad_u64_u32 v[3:4], null, s27, v0, v[2:3]
	s_lshl_b64 s[6:7], s[6:7], 2
	v_cndmask_b32_e32 v4, 0, v0, vcc_lo
	s_add_u32 s6, s13, s6
	s_addc_u32 s7, s16, s7
	s_mul_i32 s5, s5, s15
	s_load_b32 s9, s[6:7], 0x0
	s_delay_alu instid0(VALU_DEP_2) | instskip(SKIP_3) | instid1(VALU_DEP_1)
	v_dual_mov_b32 v2, v3 :: v_dual_lshlrev_b32 v5, 2, v4
	s_mul_hi_u32 s6, s4, s15
	s_mul_i32 s4, s4, s15
	s_add_i32 s5, s6, s5
	v_lshlrev_b64 v[3:4], 2, v[1:2]
	s_lshl_b64 s[6:7], s[24:25], 2
	s_lshl_b64 s[4:5], s[4:5], 2
	s_add_u32 s0, s0, s6
	s_addc_u32 s1, s1, s7
	s_add_u32 s0, s0, s4
	v_add_co_u32 v1, s3, s3, v5
	s_addc_u32 s1, s1, s5
	v_add_co_u32 v3, vcc_lo, s0, v3
	v_add_co_ci_u32_e64 v2, null, s8, 0, s3
	v_add_co_ci_u32_e32 v4, vcc_lo, s1, v4, vcc_lo
	s_waitcnt lgkmcnt(0)
	v_mul_f32_e64 v5, s2, s9
	s_mov_b32 s1, 0
	s_lshl_b64 s[2:3], s[26:27], 12
	.p2align	6
.LBB3_3:                                ; =>This Inner Loop Header: Depth=1
	global_load_b32 v6, v[3:4], off
	global_load_b32 v7, v[1:2], off
	v_add_nc_u32_e32 v0, 0x400, v0
	v_add_co_u32 v3, vcc_lo, v3, s2
	v_add_co_ci_u32_e32 v4, vcc_lo, s3, v4, vcc_lo
	s_waitcnt vmcnt(0)
	v_fmac_f32_e32 v7, v5, v6
	v_cmp_le_i32_e32 vcc_lo, s12, v0
	global_store_b32 v[1:2], v7, off
	v_add_co_u32 v1, s0, 0x1000, v1
	s_delay_alu instid0(VALU_DEP_1) | instskip(SKIP_1) | instid1(SALU_CYCLE_1)
	v_add_co_ci_u32_e64 v2, s0, 0, v2, s0
	s_or_b32 s1, vcc_lo, s1
	s_and_not1_b32 exec_lo, exec_lo, s1
	s_cbranch_execnz .LBB3_3
.LBB3_4:
	s_nop 0
	s_sendmsg sendmsg(MSG_DEALLOC_VGPRS)
	s_endpgm
	.section	.rodata,"a",@progbits
	.p2align	6, 0x0
	.amdhsa_kernel _ZL19rocblas_sger_kernelILi1024EfPKfS1_PfEviiT1_lT2_lllS4_lllT3_lmli
		.amdhsa_group_segment_fixed_size 0
		.amdhsa_private_segment_fixed_size 0
		.amdhsa_kernarg_size 124
		.amdhsa_user_sgpr_count 14
		.amdhsa_user_sgpr_dispatch_ptr 0
		.amdhsa_user_sgpr_queue_ptr 0
		.amdhsa_user_sgpr_kernarg_segment_ptr 1
		.amdhsa_user_sgpr_dispatch_id 0
		.amdhsa_user_sgpr_private_segment_size 0
		.amdhsa_wavefront_size32 1
		.amdhsa_uses_dynamic_stack 0
		.amdhsa_enable_private_segment 0
		.amdhsa_system_sgpr_workgroup_id_x 1
		.amdhsa_system_sgpr_workgroup_id_y 0
		.amdhsa_system_sgpr_workgroup_id_z 1
		.amdhsa_system_sgpr_workgroup_info 0
		.amdhsa_system_vgpr_workitem_id 0
		.amdhsa_next_free_vgpr 8
		.amdhsa_next_free_sgpr 31
		.amdhsa_reserve_vcc 1
		.amdhsa_float_round_mode_32 0
		.amdhsa_float_round_mode_16_64 0
		.amdhsa_float_denorm_mode_32 3
		.amdhsa_float_denorm_mode_16_64 3
		.amdhsa_dx10_clamp 1
		.amdhsa_ieee_mode 1
		.amdhsa_fp16_overflow 0
		.amdhsa_workgroup_processor_mode 1
		.amdhsa_memory_ordered 1
		.amdhsa_forward_progress 0
		.amdhsa_shared_vgpr_count 0
		.amdhsa_exception_fp_ieee_invalid_op 0
		.amdhsa_exception_fp_denorm_src 0
		.amdhsa_exception_fp_ieee_div_zero 0
		.amdhsa_exception_fp_ieee_overflow 0
		.amdhsa_exception_fp_ieee_underflow 0
		.amdhsa_exception_fp_ieee_inexact 0
		.amdhsa_exception_int_div_zero 0
	.end_amdhsa_kernel
	.section	.text._ZL19rocblas_sger_kernelILi1024EfPKfS1_PfEviiT1_lT2_lllS4_lllT3_lmli,"axG",@progbits,_ZL19rocblas_sger_kernelILi1024EfPKfS1_PfEviiT1_lT2_lllS4_lllT3_lmli,comdat
.Lfunc_end3:
	.size	_ZL19rocblas_sger_kernelILi1024EfPKfS1_PfEviiT1_lT2_lllS4_lllT3_lmli, .Lfunc_end3-_ZL19rocblas_sger_kernelILi1024EfPKfS1_PfEviiT1_lT2_lllS4_lllT3_lmli
                                        ; -- End function
	.section	.AMDGPU.csdata,"",@progbits
; Kernel info:
; codeLenInByte = 548
; NumSgprs: 33
; NumVgprs: 8
; ScratchSize: 0
; MemoryBound: 0
; FloatMode: 240
; IeeeMode: 1
; LDSByteSize: 0 bytes/workgroup (compile time only)
; SGPRBlocks: 4
; VGPRBlocks: 0
; NumSGPRsForWavesPerEU: 33
; NumVGPRsForWavesPerEU: 8
; Occupancy: 16
; WaveLimiterHint : 0
; COMPUTE_PGM_RSRC2:SCRATCH_EN: 0
; COMPUTE_PGM_RSRC2:USER_SGPR: 14
; COMPUTE_PGM_RSRC2:TRAP_HANDLER: 0
; COMPUTE_PGM_RSRC2:TGID_X_EN: 1
; COMPUTE_PGM_RSRC2:TGID_Y_EN: 0
; COMPUTE_PGM_RSRC2:TGID_Z_EN: 1
; COMPUTE_PGM_RSRC2:TIDIG_COMP_CNT: 0
	.section	.text._ZL19rocblas_sger_kernelILi1024EffPKfPfEviiT1_lT2_lllS4_lllT3_lmli,"axG",@progbits,_ZL19rocblas_sger_kernelILi1024EffPKfPfEviiT1_lT2_lllS4_lllT3_lmli,comdat
	.globl	_ZL19rocblas_sger_kernelILi1024EffPKfPfEviiT1_lT2_lllS4_lllT3_lmli ; -- Begin function _ZL19rocblas_sger_kernelILi1024EffPKfPfEviiT1_lT2_lllS4_lllT3_lmli
	.p2align	8
	.type	_ZL19rocblas_sger_kernelILi1024EffPKfPfEviiT1_lT2_lllS4_lllT3_lmli,@function
_ZL19rocblas_sger_kernelILi1024EffPKfPfEviiT1_lT2_lllS4_lllT3_lmli: ; @_ZL19rocblas_sger_kernelILi1024EffPKfPfEviiT1_lT2_lllS4_lllT3_lmli
; %bb.0:
	s_load_b32 s2, s[0:1], 0x8
	s_waitcnt lgkmcnt(0)
	v_cmp_eq_f32_e64 s3, s2, 0
	s_delay_alu instid0(VALU_DEP_1)
	s_and_b32 vcc_lo, exec_lo, s3
	s_cbranch_vccnz .LBB4_4
; %bb.1:
	s_load_b32 s12, s[0:1], 0x0
	s_waitcnt lgkmcnt(0)
	v_cmp_gt_i32_e32 vcc_lo, s12, v0
	s_and_saveexec_b32 s3, vcc_lo
	s_cbranch_execz .LBB4_4
; %bb.2:
	s_clause 0x4
	s_load_b256 s[16:23], s[0:1], 0x50
	s_load_b64 s[28:29], s[0:1], 0x70
	s_load_b256 s[4:11], s[0:1], 0x30
	s_load_b128 s[24:27], s[0:1], 0x20
	s_load_b64 s[0:1], s[0:1], 0x18
	s_waitcnt lgkmcnt(0)
	s_mul_i32 s3, s15, s17
	s_mul_hi_u32 s13, s15, s16
	s_mul_i32 s16, s15, s16
	s_add_i32 s17, s13, s3
	s_mul_i32 s29, s15, s29
	s_lshl_b64 s[16:17], s[16:17], 2
	s_mul_hi_u32 s30, s15, s28
	s_add_u32 s13, s6, s16
	s_addc_u32 s16, s7, s17
	s_lshl_b64 s[6:7], s[8:9], 2
	s_mul_i32 s28, s15, s28
	s_add_u32 s13, s13, s6
	s_addc_u32 s16, s16, s7
	s_add_i32 s29, s30, s29
	s_mul_i32 s3, s14, s23
	s_lshl_b64 s[8:9], s[28:29], 2
	s_mul_hi_u32 s17, s14, s22
	s_add_u32 s7, s18, s8
	s_addc_u32 s18, s19, s9
	s_lshl_b64 s[8:9], s[20:21], 2
	s_mul_i32 s6, s14, s22
	s_add_u32 s8, s7, s8
	s_addc_u32 s9, s18, s9
	s_ashr_i32 s18, s14, 31
	s_add_i32 s3, s17, s3
	s_mul_i32 s7, s18, s22
	s_mul_i32 s11, s14, s11
	s_add_i32 s7, s3, s7
	s_mul_hi_u32 s17, s14, s10
	s_lshl_b64 s[6:7], s[6:7], 2
	v_mad_u64_u32 v[1:2], null, s26, v0, 0
	s_add_u32 s3, s6, s8
	s_mul_i32 s18, s18, s10
	s_addc_u32 s8, s7, s9
	s_add_i32 s7, s17, s11
	s_mul_i32 s6, s14, s10
	s_add_i32 s7, s7, s18
	s_delay_alu instid0(VALU_DEP_1)
	v_mad_u64_u32 v[3:4], null, s27, v0, v[2:3]
	s_lshl_b64 s[6:7], s[6:7], 2
	v_cndmask_b32_e32 v4, 0, v0, vcc_lo
	s_add_u32 s6, s13, s6
	s_addc_u32 s7, s16, s7
	s_mul_i32 s5, s5, s15
	s_load_b32 s9, s[6:7], 0x0
	s_delay_alu instid0(VALU_DEP_2) | instskip(SKIP_3) | instid1(VALU_DEP_1)
	v_dual_mov_b32 v2, v3 :: v_dual_lshlrev_b32 v5, 2, v4
	s_mul_hi_u32 s6, s4, s15
	s_mul_i32 s4, s4, s15
	s_add_i32 s5, s6, s5
	v_lshlrev_b64 v[3:4], 2, v[1:2]
	s_lshl_b64 s[6:7], s[24:25], 2
	s_lshl_b64 s[4:5], s[4:5], 2
	s_add_u32 s0, s0, s6
	s_addc_u32 s1, s1, s7
	s_add_u32 s0, s0, s4
	v_add_co_u32 v1, s3, s3, v5
	s_addc_u32 s1, s1, s5
	v_add_co_u32 v3, vcc_lo, s0, v3
	v_add_co_ci_u32_e64 v2, null, s8, 0, s3
	v_add_co_ci_u32_e32 v4, vcc_lo, s1, v4, vcc_lo
	s_waitcnt lgkmcnt(0)
	v_mul_f32_e64 v5, s9, s2
	s_mov_b32 s1, 0
	s_lshl_b64 s[2:3], s[26:27], 12
	.p2align	6
.LBB4_3:                                ; =>This Inner Loop Header: Depth=1
	global_load_b32 v6, v[3:4], off
	global_load_b32 v7, v[1:2], off
	v_add_nc_u32_e32 v0, 0x400, v0
	v_add_co_u32 v3, vcc_lo, v3, s2
	v_add_co_ci_u32_e32 v4, vcc_lo, s3, v4, vcc_lo
	s_waitcnt vmcnt(0)
	v_fmac_f32_e32 v7, v5, v6
	v_cmp_le_i32_e32 vcc_lo, s12, v0
	global_store_b32 v[1:2], v7, off
	v_add_co_u32 v1, s0, 0x1000, v1
	s_delay_alu instid0(VALU_DEP_1) | instskip(SKIP_1) | instid1(SALU_CYCLE_1)
	v_add_co_ci_u32_e64 v2, s0, 0, v2, s0
	s_or_b32 s1, vcc_lo, s1
	s_and_not1_b32 exec_lo, exec_lo, s1
	s_cbranch_execnz .LBB4_3
.LBB4_4:
	s_nop 0
	s_sendmsg sendmsg(MSG_DEALLOC_VGPRS)
	s_endpgm
	.section	.rodata,"a",@progbits
	.p2align	6, 0x0
	.amdhsa_kernel _ZL19rocblas_sger_kernelILi1024EffPKfPfEviiT1_lT2_lllS4_lllT3_lmli
		.amdhsa_group_segment_fixed_size 0
		.amdhsa_private_segment_fixed_size 0
		.amdhsa_kernarg_size 124
		.amdhsa_user_sgpr_count 14
		.amdhsa_user_sgpr_dispatch_ptr 0
		.amdhsa_user_sgpr_queue_ptr 0
		.amdhsa_user_sgpr_kernarg_segment_ptr 1
		.amdhsa_user_sgpr_dispatch_id 0
		.amdhsa_user_sgpr_private_segment_size 0
		.amdhsa_wavefront_size32 1
		.amdhsa_uses_dynamic_stack 0
		.amdhsa_enable_private_segment 0
		.amdhsa_system_sgpr_workgroup_id_x 1
		.amdhsa_system_sgpr_workgroup_id_y 0
		.amdhsa_system_sgpr_workgroup_id_z 1
		.amdhsa_system_sgpr_workgroup_info 0
		.amdhsa_system_vgpr_workitem_id 0
		.amdhsa_next_free_vgpr 8
		.amdhsa_next_free_sgpr 31
		.amdhsa_reserve_vcc 1
		.amdhsa_float_round_mode_32 0
		.amdhsa_float_round_mode_16_64 0
		.amdhsa_float_denorm_mode_32 3
		.amdhsa_float_denorm_mode_16_64 3
		.amdhsa_dx10_clamp 1
		.amdhsa_ieee_mode 1
		.amdhsa_fp16_overflow 0
		.amdhsa_workgroup_processor_mode 1
		.amdhsa_memory_ordered 1
		.amdhsa_forward_progress 0
		.amdhsa_shared_vgpr_count 0
		.amdhsa_exception_fp_ieee_invalid_op 0
		.amdhsa_exception_fp_denorm_src 0
		.amdhsa_exception_fp_ieee_div_zero 0
		.amdhsa_exception_fp_ieee_overflow 0
		.amdhsa_exception_fp_ieee_underflow 0
		.amdhsa_exception_fp_ieee_inexact 0
		.amdhsa_exception_int_div_zero 0
	.end_amdhsa_kernel
	.section	.text._ZL19rocblas_sger_kernelILi1024EffPKfPfEviiT1_lT2_lllS4_lllT3_lmli,"axG",@progbits,_ZL19rocblas_sger_kernelILi1024EffPKfPfEviiT1_lT2_lllS4_lllT3_lmli,comdat
.Lfunc_end4:
	.size	_ZL19rocblas_sger_kernelILi1024EffPKfPfEviiT1_lT2_lllS4_lllT3_lmli, .Lfunc_end4-_ZL19rocblas_sger_kernelILi1024EffPKfPfEviiT1_lT2_lllS4_lllT3_lmli
                                        ; -- End function
	.section	.AMDGPU.csdata,"",@progbits
; Kernel info:
; codeLenInByte = 504
; NumSgprs: 33
; NumVgprs: 8
; ScratchSize: 0
; MemoryBound: 0
; FloatMode: 240
; IeeeMode: 1
; LDSByteSize: 0 bytes/workgroup (compile time only)
; SGPRBlocks: 4
; VGPRBlocks: 0
; NumSGPRsForWavesPerEU: 33
; NumVGPRsForWavesPerEU: 8
; Occupancy: 16
; WaveLimiterHint : 0
; COMPUTE_PGM_RSRC2:SCRATCH_EN: 0
; COMPUTE_PGM_RSRC2:USER_SGPR: 14
; COMPUTE_PGM_RSRC2:TRAP_HANDLER: 0
; COMPUTE_PGM_RSRC2:TGID_X_EN: 1
; COMPUTE_PGM_RSRC2:TGID_Y_EN: 0
; COMPUTE_PGM_RSRC2:TGID_Z_EN: 1
; COMPUTE_PGM_RSRC2:TIDIG_COMP_CNT: 0
	.section	.text._ZL18rocblas_ger_kernelILi32ELi32ELi2ELb0EfPKfS1_PfEviiT4_lT5_lllS4_lllT6_lmli,"axG",@progbits,_ZL18rocblas_ger_kernelILi32ELi32ELi2ELb0EfPKfS1_PfEviiT4_lT5_lllS4_lllT6_lmli,comdat
	.globl	_ZL18rocblas_ger_kernelILi32ELi32ELi2ELb0EfPKfS1_PfEviiT4_lT5_lllS4_lllT6_lmli ; -- Begin function _ZL18rocblas_ger_kernelILi32ELi32ELi2ELb0EfPKfS1_PfEviiT4_lT5_lllS4_lllT6_lmli
	.p2align	8
	.type	_ZL18rocblas_ger_kernelILi32ELi32ELi2ELb0EfPKfS1_PfEviiT4_lT5_lllS4_lllT6_lmli,@function
_ZL18rocblas_ger_kernelILi32ELi32ELi2ELb0EfPKfS1_PfEviiT4_lT5_lllS4_lllT6_lmli: ; @_ZL18rocblas_ger_kernelILi32ELi32ELi2ELb0EfPKfS1_PfEviiT4_lT5_lllS4_lllT6_lmli
; %bb.0:
	s_clause 0x1
	s_load_b64 s[4:5], s[0:1], 0x0
	s_load_b128 s[8:11], s[0:1], 0x8
	s_waitcnt lgkmcnt(0)
	s_add_i32 s2, s4, -1
	s_mul_i32 s6, s15, s11
	s_ashr_i32 s3, s2, 31
	s_mul_hi_u32 s7, s15, s10
	s_lshr_b32 s3, s3, 27
	s_add_i32 s7, s7, s6
	s_add_i32 s2, s2, s3
	s_mul_i32 s6, s15, s10
	s_ashr_i32 s2, s2, 5
	s_lshl_b64 s[6:7], s[6:7], 2
	s_add_i32 s10, s2, 1
	s_add_u32 s6, s8, s6
	v_cvt_f32_u32_e32 v1, s10
	s_addc_u32 s7, s9, s7
	s_load_b32 s8, s[6:7], 0x0
	s_delay_alu instid0(VALU_DEP_1) | instskip(SKIP_2) | instid1(VALU_DEP_1)
	v_rcp_iflag_f32_e32 v1, v1
	s_waitcnt_depctr 0xfff
	v_mul_f32_e32 v1, 0x4f7ffffe, v1
	v_cvt_u32_f32_e32 v1, v1
	s_waitcnt lgkmcnt(0)
	v_cmp_eq_f32_e64 s6, s8, 0
	s_delay_alu instid0(VALU_DEP_2) | instskip(NEXT) | instid1(VALU_DEP_2)
	v_readfirstlane_b32 s3, v1
	s_and_b32 vcc_lo, exec_lo, s6
	s_cbranch_vccnz .LBB5_14
; %bb.1:
	s_not_b32 s2, s2
	v_and_b32_e32 v1, 0x3ff, v0
	s_mul_i32 s2, s2, s3
	v_bfe_u32 v2, v0, 10, 10
	s_mul_hi_u32 s2, s3, s2
	s_delay_alu instid0(SALU_CYCLE_1) | instskip(NEXT) | instid1(SALU_CYCLE_1)
	s_add_i32 s3, s3, s2
	s_mul_hi_u32 s9, s14, s3
	s_clause 0x1
	s_load_b64 s[6:7], s[0:1], 0x58
	s_load_b64 s[2:3], s[0:1], 0x38
	s_mul_i32 s11, s9, s10
	s_add_i32 s12, s9, 1
	s_sub_i32 s11, s14, s11
	s_delay_alu instid0(SALU_CYCLE_1)
	s_sub_i32 s13, s11, s10
	s_cmp_ge_u32 s11, s10
	s_cselect_b32 s9, s12, s9
	s_cselect_b32 s11, s13, s11
	s_add_i32 s12, s9, 1
	s_cmp_ge_u32 s11, s10
	s_cselect_b32 s9, s12, s9
	s_delay_alu instid0(SALU_CYCLE_1) | instskip(NEXT) | instid1(SALU_CYCLE_1)
	s_mul_i32 s10, s9, s10
	s_sub_i32 s10, s14, s10
	s_delay_alu instid0(SALU_CYCLE_1)
	v_lshl_add_u32 v0, s10, 5, v1
	s_mov_b32 s10, exec_lo
	v_cmpx_eq_u32_e32 0, v2
	s_cbranch_execz .LBB5_5
; %bb.2:
	v_mov_b32_e32 v3, 0
	s_mov_b32 s11, exec_lo
	v_cmpx_gt_i32_e64 s4, v0
	s_cbranch_execz .LBB5_4
; %bb.3:
	s_clause 0x2
	s_load_b128 s[16:19], s[0:1], 0x20
	s_load_b64 s[12:13], s[0:1], 0x30
	s_load_b64 s[20:21], s[0:1], 0x18
	v_ashrrev_i32_e32 v3, 31, v0
	s_waitcnt lgkmcnt(0)
	v_mul_lo_u32 v5, v0, s19
	s_delay_alu instid0(VALU_DEP_2)
	v_mul_lo_u32 v6, v3, s18
	v_mad_u64_u32 v[3:4], null, v0, s18, 0
	s_mul_i32 s13, s15, s13
	s_mul_hi_u32 s14, s15, s12
	s_mul_i32 s12, s15, s12
	s_add_i32 s13, s14, s13
	s_delay_alu instid0(SALU_CYCLE_1) | instskip(NEXT) | instid1(VALU_DEP_1)
	s_lshl_b64 s[12:13], s[12:13], 2
	v_add3_u32 v4, v4, v5, v6
	s_add_u32 s14, s20, s12
	s_addc_u32 s18, s21, s13
	s_lshl_b64 s[12:13], s[16:17], 2
	s_delay_alu instid0(VALU_DEP_1) | instskip(SKIP_2) | instid1(VALU_DEP_1)
	v_lshlrev_b64 v[3:4], 2, v[3:4]
	s_add_u32 s12, s14, s12
	s_addc_u32 s13, s18, s13
	v_add_co_u32 v3, vcc_lo, s12, v3
	s_delay_alu instid0(VALU_DEP_2)
	v_add_co_ci_u32_e32 v4, vcc_lo, s13, v4, vcc_lo
	global_load_b32 v3, v[3:4], off
.LBB5_4:
	s_or_b32 exec_lo, exec_lo, s11
	v_lshlrev_b32_e32 v4, 2, v1
	s_waitcnt vmcnt(0)
	ds_store_b32 v4, v3 offset:256
.LBB5_5:
	s_or_b32 exec_lo, exec_lo, s10
	v_lshlrev_b32_e32 v3, 1, v2
	s_delay_alu instid0(VALU_DEP_1)
	v_lshl_add_u32 v2, s9, 6, v3
	s_mov_b32 s9, exec_lo
	v_cmpx_gt_u32_e32 2, v1
	s_cbranch_execz .LBB5_9
; %bb.6:
	s_delay_alu instid0(VALU_DEP_2) | instskip(SKIP_2) | instid1(VALU_DEP_2)
	v_or_b32_e32 v4, v2, v1
	v_mov_b32_e32 v5, 0
	s_mov_b32 s10, exec_lo
	v_cmpx_gt_u32_e64 s5, v4
	s_cbranch_execz .LBB5_8
; %bb.7:
	s_clause 0x1
	s_load_b128 s[16:19], s[0:1], 0x40
	s_load_b64 s[12:13], s[0:1], 0x50
	s_waitcnt lgkmcnt(0)
	v_mad_u64_u32 v[5:6], null, v4, s18, 0
	s_mul_i32 s11, s15, s13
	s_mul_hi_u32 s13, s15, s12
	s_mul_i32 s12, s15, s12
	s_add_i32 s13, s13, s11
	s_delay_alu instid0(SALU_CYCLE_1) | instskip(NEXT) | instid1(VALU_DEP_1)
	s_lshl_b64 s[12:13], s[12:13], 2
	v_mad_u64_u32 v[7:8], null, v4, s19, v[6:7]
	s_add_u32 s11, s2, s12
	s_addc_u32 s12, s3, s13
	s_lshl_b64 s[2:3], s[16:17], 2
	s_delay_alu instid0(SALU_CYCLE_1) | instskip(SKIP_1) | instid1(VALU_DEP_1)
	s_add_u32 s2, s11, s2
	s_addc_u32 s3, s12, s3
	v_mov_b32_e32 v6, v7
	s_delay_alu instid0(VALU_DEP_1) | instskip(NEXT) | instid1(VALU_DEP_1)
	v_lshlrev_b64 v[4:5], 2, v[5:6]
	v_add_co_u32 v4, vcc_lo, s2, v4
	s_delay_alu instid0(VALU_DEP_2)
	v_add_co_ci_u32_e32 v5, vcc_lo, s3, v5, vcc_lo
	global_load_b32 v5, v[4:5], off
.LBB5_8:
	s_or_b32 exec_lo, exec_lo, s10
	v_or_b32_e32 v4, v3, v1
	s_delay_alu instid0(VALU_DEP_1)
	v_lshlrev_b32_e32 v4, 2, v4
	s_waitcnt vmcnt(0)
	ds_store_b32 v4, v5
.LBB5_9:
	s_or_b32 exec_lo, exec_lo, s9
	s_waitcnt lgkmcnt(0)
	s_barrier
	buffer_gl0_inv
	s_mov_b32 s2, exec_lo
	v_cmpx_gt_i32_e64 s4, v0
	s_cbranch_execz .LBB5_14
; %bb.10:
	s_clause 0x1
	s_load_b64 s[10:11], s[0:1], 0x70
	s_load_b128 s[0:3], s[0:1], 0x60
	v_lshlrev_b32_e32 v1, 2, v1
	ds_load_b32 v6, v1 offset:256
	v_ashrrev_i32_e32 v1, 31, v0
	s_delay_alu instid0(VALU_DEP_1)
	v_lshlrev_b64 v[4:5], 2, v[0:1]
	v_lshlrev_b32_e32 v1, 2, v3
	s_waitcnt lgkmcnt(0)
	s_mul_i32 s4, s15, s11
	s_mul_hi_u32 s9, s15, s10
	s_mul_i32 s10, s15, s10
	s_add_i32 s11, s9, s4
	s_delay_alu instid0(SALU_CYCLE_1) | instskip(SKIP_4) | instid1(SALU_CYCLE_1)
	s_lshl_b64 s[10:11], s[10:11], 2
	v_mul_f32_e32 v0, s8, v6
	s_add_u32 s4, s6, s10
	s_addc_u32 s6, s7, s11
	s_lshl_b64 s[0:1], s[0:1], 2
	s_add_u32 s0, s4, s0
	s_addc_u32 s1, s6, s1
	v_add_co_u32 v4, s0, s0, v4
	s_delay_alu instid0(VALU_DEP_1)
	v_add_co_ci_u32_e64 v5, s0, s1, v5, s0
	s_mov_b32 s0, exec_lo
	v_cmpx_gt_i32_e64 s5, v2
	s_cbranch_execz .LBB5_12
; %bb.11:
	v_ashrrev_i32_e32 v3, 31, v2
	v_mul_lo_u32 v8, v2, s3
	v_mad_u64_u32 v[6:7], null, v2, s2, 0
	s_delay_alu instid0(VALU_DEP_3) | instskip(NEXT) | instid1(VALU_DEP_1)
	v_mul_lo_u32 v3, v3, s2
	v_add3_u32 v7, v7, v8, v3
	ds_load_b32 v8, v1
	v_lshlrev_b64 v[6:7], 2, v[6:7]
	s_delay_alu instid0(VALU_DEP_1) | instskip(NEXT) | instid1(VALU_DEP_2)
	v_add_co_u32 v6, vcc_lo, v4, v6
	v_add_co_ci_u32_e32 v7, vcc_lo, v5, v7, vcc_lo
	global_load_b32 v3, v[6:7], off
	s_waitcnt vmcnt(0) lgkmcnt(0)
	v_fmac_f32_e32 v3, v0, v8
	global_store_b32 v[6:7], v3, off
.LBB5_12:
	s_or_b32 exec_lo, exec_lo, s0
	v_or_b32_e32 v2, 1, v2
	s_delay_alu instid0(VALU_DEP_1)
	v_cmp_gt_i32_e32 vcc_lo, s5, v2
	s_and_b32 exec_lo, exec_lo, vcc_lo
	s_cbranch_execz .LBB5_14
; %bb.13:
	v_ashrrev_i32_e32 v3, 31, v2
	v_mul_lo_u32 v8, v2, s3
	v_mad_u64_u32 v[6:7], null, v2, s2, 0
	ds_load_b32 v1, v1 offset:4
	v_mul_lo_u32 v2, v3, s2
	s_delay_alu instid0(VALU_DEP_1) | instskip(NEXT) | instid1(VALU_DEP_1)
	v_add3_u32 v7, v7, v8, v2
	v_lshlrev_b64 v[2:3], 2, v[6:7]
	s_delay_alu instid0(VALU_DEP_1) | instskip(NEXT) | instid1(VALU_DEP_2)
	v_add_co_u32 v2, vcc_lo, v4, v2
	v_add_co_ci_u32_e32 v3, vcc_lo, v5, v3, vcc_lo
	global_load_b32 v4, v[2:3], off
	s_waitcnt vmcnt(0) lgkmcnt(0)
	v_fmac_f32_e32 v4, v0, v1
	global_store_b32 v[2:3], v4, off
.LBB5_14:
	s_nop 0
	s_sendmsg sendmsg(MSG_DEALLOC_VGPRS)
	s_endpgm
	.section	.rodata,"a",@progbits
	.p2align	6, 0x0
	.amdhsa_kernel _ZL18rocblas_ger_kernelILi32ELi32ELi2ELb0EfPKfS1_PfEviiT4_lT5_lllS4_lllT6_lmli
		.amdhsa_group_segment_fixed_size 384
		.amdhsa_private_segment_fixed_size 0
		.amdhsa_kernarg_size 124
		.amdhsa_user_sgpr_count 14
		.amdhsa_user_sgpr_dispatch_ptr 0
		.amdhsa_user_sgpr_queue_ptr 0
		.amdhsa_user_sgpr_kernarg_segment_ptr 1
		.amdhsa_user_sgpr_dispatch_id 0
		.amdhsa_user_sgpr_private_segment_size 0
		.amdhsa_wavefront_size32 1
		.amdhsa_uses_dynamic_stack 0
		.amdhsa_enable_private_segment 0
		.amdhsa_system_sgpr_workgroup_id_x 1
		.amdhsa_system_sgpr_workgroup_id_y 0
		.amdhsa_system_sgpr_workgroup_id_z 1
		.amdhsa_system_sgpr_workgroup_info 0
		.amdhsa_system_vgpr_workitem_id 1
		.amdhsa_next_free_vgpr 9
		.amdhsa_next_free_sgpr 22
		.amdhsa_reserve_vcc 1
		.amdhsa_float_round_mode_32 0
		.amdhsa_float_round_mode_16_64 0
		.amdhsa_float_denorm_mode_32 3
		.amdhsa_float_denorm_mode_16_64 3
		.amdhsa_dx10_clamp 1
		.amdhsa_ieee_mode 1
		.amdhsa_fp16_overflow 0
		.amdhsa_workgroup_processor_mode 1
		.amdhsa_memory_ordered 1
		.amdhsa_forward_progress 0
		.amdhsa_shared_vgpr_count 0
		.amdhsa_exception_fp_ieee_invalid_op 0
		.amdhsa_exception_fp_denorm_src 0
		.amdhsa_exception_fp_ieee_div_zero 0
		.amdhsa_exception_fp_ieee_overflow 0
		.amdhsa_exception_fp_ieee_underflow 0
		.amdhsa_exception_fp_ieee_inexact 0
		.amdhsa_exception_int_div_zero 0
	.end_amdhsa_kernel
	.section	.text._ZL18rocblas_ger_kernelILi32ELi32ELi2ELb0EfPKfS1_PfEviiT4_lT5_lllS4_lllT6_lmli,"axG",@progbits,_ZL18rocblas_ger_kernelILi32ELi32ELi2ELb0EfPKfS1_PfEviiT4_lT5_lllS4_lllT6_lmli,comdat
.Lfunc_end5:
	.size	_ZL18rocblas_ger_kernelILi32ELi32ELi2ELb0EfPKfS1_PfEviiT4_lT5_lllS4_lllT6_lmli, .Lfunc_end5-_ZL18rocblas_ger_kernelILi32ELi32ELi2ELb0EfPKfS1_PfEviiT4_lT5_lllS4_lllT6_lmli
                                        ; -- End function
	.section	.AMDGPU.csdata,"",@progbits
; Kernel info:
; codeLenInByte = 1092
; NumSgprs: 24
; NumVgprs: 9
; ScratchSize: 0
; MemoryBound: 0
; FloatMode: 240
; IeeeMode: 1
; LDSByteSize: 384 bytes/workgroup (compile time only)
; SGPRBlocks: 2
; VGPRBlocks: 1
; NumSGPRsForWavesPerEU: 24
; NumVGPRsForWavesPerEU: 9
; Occupancy: 16
; WaveLimiterHint : 0
; COMPUTE_PGM_RSRC2:SCRATCH_EN: 0
; COMPUTE_PGM_RSRC2:USER_SGPR: 14
; COMPUTE_PGM_RSRC2:TRAP_HANDLER: 0
; COMPUTE_PGM_RSRC2:TGID_X_EN: 1
; COMPUTE_PGM_RSRC2:TGID_Y_EN: 0
; COMPUTE_PGM_RSRC2:TGID_Z_EN: 1
; COMPUTE_PGM_RSRC2:TIDIG_COMP_CNT: 1
	.section	.text._ZL18rocblas_ger_kernelILi32ELi32ELi2ELb0EffPKfPfEviiT4_lT5_lllS4_lllT6_lmli,"axG",@progbits,_ZL18rocblas_ger_kernelILi32ELi32ELi2ELb0EffPKfPfEviiT4_lT5_lllS4_lllT6_lmli,comdat
	.globl	_ZL18rocblas_ger_kernelILi32ELi32ELi2ELb0EffPKfPfEviiT4_lT5_lllS4_lllT6_lmli ; -- Begin function _ZL18rocblas_ger_kernelILi32ELi32ELi2ELb0EffPKfPfEviiT4_lT5_lllS4_lllT6_lmli
	.p2align	8
	.type	_ZL18rocblas_ger_kernelILi32ELi32ELi2ELb0EffPKfPfEviiT4_lT5_lllS4_lllT6_lmli,@function
_ZL18rocblas_ger_kernelILi32ELi32ELi2ELb0EffPKfPfEviiT4_lT5_lllS4_lllT6_lmli: ; @_ZL18rocblas_ger_kernelILi32ELi32ELi2ELb0EffPKfPfEviiT4_lT5_lllS4_lllT6_lmli
; %bb.0:
	s_load_b128 s[4:7], s[0:1], 0x0
	s_waitcnt lgkmcnt(0)
	s_add_i32 s2, s4, -1
	v_cmp_eq_f32_e64 s7, s6, 0
	s_ashr_i32 s3, s2, 31
	s_delay_alu instid0(SALU_CYCLE_1) | instskip(NEXT) | instid1(VALU_DEP_1)
	s_lshr_b32 s3, s3, 27
	s_and_b32 vcc_lo, exec_lo, s7
	s_add_i32 s2, s2, s3
	s_delay_alu instid0(SALU_CYCLE_1) | instskip(NEXT) | instid1(SALU_CYCLE_1)
	s_ashr_i32 s2, s2, 5
	s_add_i32 s10, s2, 1
	s_delay_alu instid0(SALU_CYCLE_1) | instskip(NEXT) | instid1(VALU_DEP_1)
	v_cvt_f32_u32_e32 v1, s10
	v_rcp_iflag_f32_e32 v1, v1
	s_waitcnt_depctr 0xfff
	v_mul_f32_e32 v1, 0x4f7ffffe, v1
	s_delay_alu instid0(VALU_DEP_1) | instskip(NEXT) | instid1(VALU_DEP_1)
	v_cvt_u32_f32_e32 v1, v1
	v_readfirstlane_b32 s3, v1
	s_cbranch_vccnz .LBB6_14
; %bb.1:
	s_not_b32 s2, s2
	v_and_b32_e32 v1, 0x3ff, v0
	s_delay_alu instid0(VALU_DEP_2) | instskip(SKIP_2) | instid1(SALU_CYCLE_1)
	s_mul_i32 s2, s2, s3
	v_bfe_u32 v2, v0, 10, 10
	s_mul_hi_u32 s2, s3, s2
	s_add_i32 s3, s3, s2
	s_delay_alu instid0(SALU_CYCLE_1)
	s_mul_hi_u32 s7, s14, s3
	s_clause 0x1
	s_load_b64 s[8:9], s[0:1], 0x58
	s_load_b64 s[2:3], s[0:1], 0x38
	s_mul_i32 s11, s7, s10
	s_add_i32 s12, s7, 1
	s_sub_i32 s11, s14, s11
	s_delay_alu instid0(SALU_CYCLE_1)
	s_sub_i32 s13, s11, s10
	s_cmp_ge_u32 s11, s10
	s_cselect_b32 s7, s12, s7
	s_cselect_b32 s11, s13, s11
	s_add_i32 s12, s7, 1
	s_cmp_ge_u32 s11, s10
	s_cselect_b32 s7, s12, s7
	s_delay_alu instid0(SALU_CYCLE_1) | instskip(NEXT) | instid1(SALU_CYCLE_1)
	s_mul_i32 s10, s7, s10
	s_sub_i32 s10, s14, s10
	s_delay_alu instid0(SALU_CYCLE_1)
	v_lshl_add_u32 v0, s10, 5, v1
	s_mov_b32 s10, exec_lo
	v_cmpx_eq_u32_e32 0, v2
	s_cbranch_execz .LBB6_5
; %bb.2:
	v_mov_b32_e32 v3, 0
	s_mov_b32 s11, exec_lo
	v_cmpx_gt_i32_e64 s4, v0
	s_cbranch_execz .LBB6_4
; %bb.3:
	s_clause 0x2
	s_load_b128 s[16:19], s[0:1], 0x20
	s_load_b64 s[12:13], s[0:1], 0x30
	s_load_b64 s[20:21], s[0:1], 0x18
	v_ashrrev_i32_e32 v3, 31, v0
	s_waitcnt lgkmcnt(0)
	v_mul_lo_u32 v5, v0, s19
	s_delay_alu instid0(VALU_DEP_2)
	v_mul_lo_u32 v6, v3, s18
	v_mad_u64_u32 v[3:4], null, v0, s18, 0
	s_mul_i32 s13, s15, s13
	s_mul_hi_u32 s14, s15, s12
	s_mul_i32 s12, s15, s12
	s_add_i32 s13, s14, s13
	s_delay_alu instid0(SALU_CYCLE_1) | instskip(NEXT) | instid1(VALU_DEP_1)
	s_lshl_b64 s[12:13], s[12:13], 2
	v_add3_u32 v4, v4, v5, v6
	s_add_u32 s14, s20, s12
	s_addc_u32 s18, s21, s13
	s_lshl_b64 s[12:13], s[16:17], 2
	s_delay_alu instid0(VALU_DEP_1) | instskip(SKIP_2) | instid1(VALU_DEP_1)
	v_lshlrev_b64 v[3:4], 2, v[3:4]
	s_add_u32 s12, s14, s12
	s_addc_u32 s13, s18, s13
	v_add_co_u32 v3, vcc_lo, s12, v3
	s_delay_alu instid0(VALU_DEP_2)
	v_add_co_ci_u32_e32 v4, vcc_lo, s13, v4, vcc_lo
	global_load_b32 v3, v[3:4], off
.LBB6_4:
	s_or_b32 exec_lo, exec_lo, s11
	v_lshlrev_b32_e32 v4, 2, v1
	s_waitcnt vmcnt(0)
	ds_store_b32 v4, v3 offset:256
.LBB6_5:
	s_or_b32 exec_lo, exec_lo, s10
	v_lshlrev_b32_e32 v3, 1, v2
	s_delay_alu instid0(VALU_DEP_1)
	v_lshl_add_u32 v2, s7, 6, v3
	s_mov_b32 s7, exec_lo
	v_cmpx_gt_u32_e32 2, v1
	s_cbranch_execz .LBB6_9
; %bb.6:
	s_delay_alu instid0(VALU_DEP_2) | instskip(SKIP_2) | instid1(VALU_DEP_2)
	v_or_b32_e32 v4, v2, v1
	v_mov_b32_e32 v5, 0
	s_mov_b32 s10, exec_lo
	v_cmpx_gt_u32_e64 s5, v4
	s_cbranch_execz .LBB6_8
; %bb.7:
	s_clause 0x1
	s_load_b128 s[16:19], s[0:1], 0x40
	s_load_b64 s[12:13], s[0:1], 0x50
	s_waitcnt lgkmcnt(0)
	v_mad_u64_u32 v[5:6], null, v4, s18, 0
	s_mul_i32 s11, s15, s13
	s_mul_hi_u32 s13, s15, s12
	s_mul_i32 s12, s15, s12
	s_add_i32 s13, s13, s11
	s_delay_alu instid0(SALU_CYCLE_1) | instskip(NEXT) | instid1(VALU_DEP_1)
	s_lshl_b64 s[12:13], s[12:13], 2
	v_mad_u64_u32 v[7:8], null, v4, s19, v[6:7]
	s_add_u32 s11, s2, s12
	s_addc_u32 s12, s3, s13
	s_lshl_b64 s[2:3], s[16:17], 2
	s_delay_alu instid0(SALU_CYCLE_1) | instskip(SKIP_1) | instid1(VALU_DEP_1)
	s_add_u32 s2, s11, s2
	s_addc_u32 s3, s12, s3
	v_mov_b32_e32 v6, v7
	s_delay_alu instid0(VALU_DEP_1) | instskip(NEXT) | instid1(VALU_DEP_1)
	v_lshlrev_b64 v[4:5], 2, v[5:6]
	v_add_co_u32 v4, vcc_lo, s2, v4
	s_delay_alu instid0(VALU_DEP_2)
	v_add_co_ci_u32_e32 v5, vcc_lo, s3, v5, vcc_lo
	global_load_b32 v5, v[4:5], off
.LBB6_8:
	s_or_b32 exec_lo, exec_lo, s10
	v_or_b32_e32 v4, v3, v1
	s_delay_alu instid0(VALU_DEP_1)
	v_lshlrev_b32_e32 v4, 2, v4
	s_waitcnt vmcnt(0)
	ds_store_b32 v4, v5
.LBB6_9:
	s_or_b32 exec_lo, exec_lo, s7
	s_waitcnt lgkmcnt(0)
	s_barrier
	buffer_gl0_inv
	s_mov_b32 s2, exec_lo
	v_cmpx_gt_i32_e64 s4, v0
	s_cbranch_execz .LBB6_14
; %bb.10:
	s_clause 0x1
	s_load_b64 s[10:11], s[0:1], 0x70
	s_load_b128 s[0:3], s[0:1], 0x60
	v_lshlrev_b32_e32 v1, 2, v1
	ds_load_b32 v6, v1 offset:256
	v_ashrrev_i32_e32 v1, 31, v0
	s_delay_alu instid0(VALU_DEP_1)
	v_lshlrev_b64 v[4:5], 2, v[0:1]
	v_lshlrev_b32_e32 v1, 2, v3
	s_waitcnt lgkmcnt(0)
	s_mul_i32 s4, s15, s11
	s_mul_hi_u32 s7, s15, s10
	s_mul_i32 s10, s15, s10
	s_add_i32 s11, s7, s4
	s_delay_alu instid0(SALU_CYCLE_1) | instskip(SKIP_4) | instid1(SALU_CYCLE_1)
	s_lshl_b64 s[10:11], s[10:11], 2
	v_mul_f32_e32 v0, s6, v6
	s_add_u32 s4, s8, s10
	s_addc_u32 s7, s9, s11
	s_lshl_b64 s[0:1], s[0:1], 2
	s_add_u32 s0, s4, s0
	s_addc_u32 s1, s7, s1
	v_add_co_u32 v4, s0, s0, v4
	s_delay_alu instid0(VALU_DEP_1)
	v_add_co_ci_u32_e64 v5, s0, s1, v5, s0
	s_mov_b32 s0, exec_lo
	v_cmpx_gt_i32_e64 s5, v2
	s_cbranch_execz .LBB6_12
; %bb.11:
	v_ashrrev_i32_e32 v3, 31, v2
	v_mul_lo_u32 v8, v2, s3
	v_mad_u64_u32 v[6:7], null, v2, s2, 0
	s_delay_alu instid0(VALU_DEP_3) | instskip(NEXT) | instid1(VALU_DEP_1)
	v_mul_lo_u32 v3, v3, s2
	v_add3_u32 v7, v7, v8, v3
	ds_load_b32 v8, v1
	v_lshlrev_b64 v[6:7], 2, v[6:7]
	s_delay_alu instid0(VALU_DEP_1) | instskip(NEXT) | instid1(VALU_DEP_2)
	v_add_co_u32 v6, vcc_lo, v4, v6
	v_add_co_ci_u32_e32 v7, vcc_lo, v5, v7, vcc_lo
	global_load_b32 v3, v[6:7], off
	s_waitcnt vmcnt(0) lgkmcnt(0)
	v_fmac_f32_e32 v3, v0, v8
	global_store_b32 v[6:7], v3, off
.LBB6_12:
	s_or_b32 exec_lo, exec_lo, s0
	v_or_b32_e32 v2, 1, v2
	s_delay_alu instid0(VALU_DEP_1)
	v_cmp_gt_i32_e32 vcc_lo, s5, v2
	s_and_b32 exec_lo, exec_lo, vcc_lo
	s_cbranch_execz .LBB6_14
; %bb.13:
	v_ashrrev_i32_e32 v3, 31, v2
	v_mul_lo_u32 v8, v2, s3
	v_mad_u64_u32 v[6:7], null, v2, s2, 0
	ds_load_b32 v1, v1 offset:4
	v_mul_lo_u32 v2, v3, s2
	s_delay_alu instid0(VALU_DEP_1) | instskip(NEXT) | instid1(VALU_DEP_1)
	v_add3_u32 v7, v7, v8, v2
	v_lshlrev_b64 v[2:3], 2, v[6:7]
	s_delay_alu instid0(VALU_DEP_1) | instskip(NEXT) | instid1(VALU_DEP_2)
	v_add_co_u32 v2, vcc_lo, v4, v2
	v_add_co_ci_u32_e32 v3, vcc_lo, v5, v3, vcc_lo
	global_load_b32 v4, v[2:3], off
	s_waitcnt vmcnt(0) lgkmcnt(0)
	v_fmac_f32_e32 v4, v0, v1
	global_store_b32 v[2:3], v4, off
.LBB6_14:
	s_nop 0
	s_sendmsg sendmsg(MSG_DEALLOC_VGPRS)
	s_endpgm
	.section	.rodata,"a",@progbits
	.p2align	6, 0x0
	.amdhsa_kernel _ZL18rocblas_ger_kernelILi32ELi32ELi2ELb0EffPKfPfEviiT4_lT5_lllS4_lllT6_lmli
		.amdhsa_group_segment_fixed_size 384
		.amdhsa_private_segment_fixed_size 0
		.amdhsa_kernarg_size 124
		.amdhsa_user_sgpr_count 14
		.amdhsa_user_sgpr_dispatch_ptr 0
		.amdhsa_user_sgpr_queue_ptr 0
		.amdhsa_user_sgpr_kernarg_segment_ptr 1
		.amdhsa_user_sgpr_dispatch_id 0
		.amdhsa_user_sgpr_private_segment_size 0
		.amdhsa_wavefront_size32 1
		.amdhsa_uses_dynamic_stack 0
		.amdhsa_enable_private_segment 0
		.amdhsa_system_sgpr_workgroup_id_x 1
		.amdhsa_system_sgpr_workgroup_id_y 0
		.amdhsa_system_sgpr_workgroup_id_z 1
		.amdhsa_system_sgpr_workgroup_info 0
		.amdhsa_system_vgpr_workitem_id 1
		.amdhsa_next_free_vgpr 9
		.amdhsa_next_free_sgpr 22
		.amdhsa_reserve_vcc 1
		.amdhsa_float_round_mode_32 0
		.amdhsa_float_round_mode_16_64 0
		.amdhsa_float_denorm_mode_32 3
		.amdhsa_float_denorm_mode_16_64 3
		.amdhsa_dx10_clamp 1
		.amdhsa_ieee_mode 1
		.amdhsa_fp16_overflow 0
		.amdhsa_workgroup_processor_mode 1
		.amdhsa_memory_ordered 1
		.amdhsa_forward_progress 0
		.amdhsa_shared_vgpr_count 0
		.amdhsa_exception_fp_ieee_invalid_op 0
		.amdhsa_exception_fp_denorm_src 0
		.amdhsa_exception_fp_ieee_div_zero 0
		.amdhsa_exception_fp_ieee_overflow 0
		.amdhsa_exception_fp_ieee_underflow 0
		.amdhsa_exception_fp_ieee_inexact 0
		.amdhsa_exception_int_div_zero 0
	.end_amdhsa_kernel
	.section	.text._ZL18rocblas_ger_kernelILi32ELi32ELi2ELb0EffPKfPfEviiT4_lT5_lllS4_lllT6_lmli,"axG",@progbits,_ZL18rocblas_ger_kernelILi32ELi32ELi2ELb0EffPKfPfEviiT4_lT5_lllS4_lllT6_lmli,comdat
.Lfunc_end6:
	.size	_ZL18rocblas_ger_kernelILi32ELi32ELi2ELb0EffPKfPfEviiT4_lT5_lllS4_lllT6_lmli, .Lfunc_end6-_ZL18rocblas_ger_kernelILi32ELi32ELi2ELb0EffPKfPfEviiT4_lT5_lllS4_lllT6_lmli
                                        ; -- End function
	.section	.AMDGPU.csdata,"",@progbits
; Kernel info:
; codeLenInByte = 1052
; NumSgprs: 24
; NumVgprs: 9
; ScratchSize: 0
; MemoryBound: 0
; FloatMode: 240
; IeeeMode: 1
; LDSByteSize: 384 bytes/workgroup (compile time only)
; SGPRBlocks: 2
; VGPRBlocks: 1
; NumSGPRsForWavesPerEU: 24
; NumVGPRsForWavesPerEU: 9
; Occupancy: 16
; WaveLimiterHint : 0
; COMPUTE_PGM_RSRC2:SCRATCH_EN: 0
; COMPUTE_PGM_RSRC2:USER_SGPR: 14
; COMPUTE_PGM_RSRC2:TRAP_HANDLER: 0
; COMPUTE_PGM_RSRC2:TGID_X_EN: 1
; COMPUTE_PGM_RSRC2:TGID_Y_EN: 0
; COMPUTE_PGM_RSRC2:TGID_Z_EN: 1
; COMPUTE_PGM_RSRC2:TIDIG_COMP_CNT: 1
	.section	.text._ZL34rocblas_ger_double_buffered_kernelILb0ELi64ELi16ELi2Ed24rocblas_internal_val_ptrIdEPKdPdEvbiiT4_lT5_lllS6_lllT6_lmli,"axG",@progbits,_ZL34rocblas_ger_double_buffered_kernelILb0ELi64ELi16ELi2Ed24rocblas_internal_val_ptrIdEPKdPdEvbiiT4_lT5_lllS6_lllT6_lmli,comdat
	.globl	_ZL34rocblas_ger_double_buffered_kernelILb0ELi64ELi16ELi2Ed24rocblas_internal_val_ptrIdEPKdPdEvbiiT4_lT5_lllS6_lllT6_lmli ; -- Begin function _ZL34rocblas_ger_double_buffered_kernelILb0ELi64ELi16ELi2Ed24rocblas_internal_val_ptrIdEPKdPdEvbiiT4_lT5_lllS6_lllT6_lmli
	.p2align	8
	.type	_ZL34rocblas_ger_double_buffered_kernelILb0ELi64ELi16ELi2Ed24rocblas_internal_val_ptrIdEPKdPdEvbiiT4_lT5_lllS6_lllT6_lmli,@function
_ZL34rocblas_ger_double_buffered_kernelILb0ELi64ELi16ELi2Ed24rocblas_internal_val_ptrIdEPKdPdEvbiiT4_lT5_lllS6_lllT6_lmli: ; @_ZL34rocblas_ger_double_buffered_kernelILb0ELi64ELi16ELi2Ed24rocblas_internal_val_ptrIdEPKdPdEvbiiT4_lT5_lllS6_lllT6_lmli
; %bb.0:
	s_clause 0x1
	s_load_b32 s2, s[0:1], 0x0
	s_load_b128 s[4:7], s[0:1], 0x10
	s_waitcnt lgkmcnt(0)
	s_bitcmp1_b32 s2, 0
	v_dual_mov_b32 v1, s4 :: v_dual_mov_b32 v2, s5
	s_cselect_b32 s2, -1, 0
	s_delay_alu instid0(SALU_CYCLE_1)
	s_and_b32 vcc_lo, exec_lo, s2
	s_cbranch_vccnz .LBB7_2
; %bb.1:
	s_mul_i32 s2, s15, s7
	s_mul_hi_u32 s3, s15, s6
	s_delay_alu instid0(SALU_CYCLE_1) | instskip(SKIP_1) | instid1(SALU_CYCLE_1)
	s_add_i32 s3, s3, s2
	s_mul_i32 s2, s15, s6
	s_lshl_b64 s[2:3], s[2:3], 3
	s_delay_alu instid0(SALU_CYCLE_1) | instskip(SKIP_1) | instid1(SALU_CYCLE_1)
	s_add_u32 s2, s4, s2
	s_addc_u32 s3, s5, s3
	v_dual_mov_b32 v1, s2 :: v_dual_mov_b32 v2, s3
	flat_load_b64 v[1:2], v[1:2]
.LBB7_2:
	s_mov_b32 s2, exec_lo
	s_waitcnt vmcnt(0) lgkmcnt(0)
	v_cmpx_neq_f64_e32 0, v[1:2]
	s_cbranch_execz .LBB7_4
; %bb.3:
	s_clause 0x4
	s_load_b64 s[24:25], s[0:1], 0x78
	s_load_b256 s[4:11], s[0:1], 0x58
	s_load_b256 s[16:23], s[0:1], 0x38
	s_load_b64 s[26:27], s[0:1], 0x20
	s_load_b128 s[0:3], s[0:1], 0x28
	v_and_b32_e32 v3, 0x3ff, v0
	v_bfe_u32 v0, v0, 10, 10
	s_delay_alu instid0(VALU_DEP_2) | instskip(NEXT) | instid1(VALU_DEP_2)
	v_and_b32_e32 v13, 31, v3
	v_lshl_add_u32 v0, v0, 6, v3
	s_delay_alu instid0(VALU_DEP_2) | instskip(NEXT) | instid1(VALU_DEP_2)
	v_or_b32_e32 v12, 32, v13
	v_lshrrev_b32_e32 v14, 4, v0
	s_delay_alu instid0(VALU_DEP_1)
	v_and_b32_e32 v15, 0x1ffe, v14
	s_waitcnt lgkmcnt(0)
	s_mul_i32 s12, s15, s25
	s_mul_hi_u32 s25, s15, s24
	s_mul_i32 s24, s15, s24
	s_add_i32 s25, s25, s12
	s_mul_i32 s5, s15, s5
	s_lshl_b64 s[24:25], s[24:25], 3
	s_mul_hi_u32 s12, s15, s4
	s_add_u32 s24, s6, s24
	s_addc_u32 s25, s7, s25
	s_lshl_b64 s[6:7], s[8:9], 3
	s_mul_i32 s4, s15, s4
	s_add_u32 s9, s24, s6
	s_mul_i32 s8, s15, s17
	s_addc_u32 s17, s25, s7
	s_add_i32 s5, s12, s5
	s_mul_hi_u32 s7, s15, s16
	s_lshl_b64 s[4:5], s[4:5], 3
	s_mul_i32 s6, s15, s16
	s_add_u32 s12, s18, s4
	s_addc_u32 s15, s19, s5
	s_add_i32 s7, s7, s8
	v_mad_u64_u32 v[3:4], null, v13, s2, 0
	s_lshl_b64 s[4:5], s[6:7], 3
	v_mad_u64_u32 v[5:6], null, v12, s2, 0
	s_add_u32 s4, s26, s4
	s_addc_u32 s5, s27, s5
	s_lshl_b64 s[0:1], s[0:1], 3
	s_delay_alu instid0(VALU_DEP_2)
	v_mov_b32_e32 v0, v4
	s_add_u32 s6, s4, s0
	s_addc_u32 s7, s5, s1
	s_lshl_b32 s0, s13, 6
	v_mov_b32_e32 v4, v6
	s_ashr_i32 s1, s0, 31
	v_mad_u64_u32 v[9:10], null, v13, s3, v[0:1]
	s_lshl_b64 s[4:5], s[0:1], 3
	s_delay_alu instid0(VALU_DEP_2)
	v_mad_u64_u32 v[10:11], null, v12, s3, v[4:5]
	s_add_u32 s9, s9, s4
	s_addc_u32 s13, s17, s5
	s_lshl_b32 s14, s14, 6
	v_mad_u64_u32 v[7:8], null, v15, s10, 0
	s_mul_i32 s4, s14, s11
	s_mul_hi_u32 s5, s14, s10
	s_ashr_i32 s17, s14, 31
	s_add_i32 s5, s5, s4
	s_mul_i32 s18, s17, s10
	s_mul_i32 s4, s14, s10
	s_delay_alu instid0(VALU_DEP_1)
	v_mov_b32_e32 v0, v8
	s_add_i32 s5, s5, s18
	v_dual_mov_b32 v4, v9 :: v_dual_lshlrev_b32 v13, 3, v13
	s_lshl_b64 s[4:5], s[4:5], 3
	s_mul_i32 s8, s0, s3
	s_mul_hi_u32 s16, s0, s2
	s_add_u32 s4, s9, s4
	s_mul_i32 s1, s1, s2
	s_addc_u32 s5, s13, s5
	s_add_i32 s8, s16, s8
	v_mov_b32_e32 v6, v10
	s_mul_i32 s0, s0, s2
	s_add_i32 s1, s8, s1
	v_lshlrev_b64 v[3:4], 3, v[3:4]
	s_lshl_b64 s[0:1], s[0:1], 3
	v_lshlrev_b64 v[5:6], 3, v[5:6]
	s_add_u32 s0, s6, s0
	v_mad_u64_u32 v[11:12], null, v15, s11, v[0:1]
	s_addc_u32 s6, s7, s1
	v_add_co_u32 v3, vcc_lo, s0, v3
	v_add_co_ci_u32_e32 v4, vcc_lo, s6, v4, vcc_lo
	v_add_co_u32 v5, vcc_lo, s0, v5
	v_add_co_ci_u32_e32 v6, vcc_lo, s6, v6, vcc_lo
	v_mov_b32_e32 v8, v11
	v_mad_u64_u32 v[9:10], null, v15, s22, 0
	v_or_b32_e32 v17, 1, v14
	s_clause 0x1
	global_load_b64 v[3:4], v[3:4], off
	global_load_b64 v[5:6], v[5:6], off
	v_lshlrev_b64 v[7:8], 3, v[7:8]
	s_mul_i32 s2, s14, s23
	s_mul_hi_u32 s3, s14, s22
	v_mad_u64_u32 v[11:12], null, v17, s22, 0
	v_mov_b32_e32 v0, v10
	s_delay_alu instid0(VALU_DEP_3) | instskip(SKIP_1) | instid1(VALU_DEP_3)
	v_add_co_u32 v10, vcc_lo, s4, v7
	v_add_co_ci_u32_e32 v14, vcc_lo, s5, v8, vcc_lo
	v_mad_u64_u32 v[7:8], null, v15, s23, v[0:1]
	v_mov_b32_e32 v0, v12
	s_delay_alu instid0(VALU_DEP_4) | instskip(SKIP_2) | instid1(VALU_DEP_2)
	v_add_co_u32 v13, vcc_lo, v10, v13
	s_add_i32 s1, s3, s2
	s_mul_i32 s17, s17, s22
	v_mad_u64_u32 v[15:16], null, v17, s23, v[0:1]
	s_delay_alu instid0(VALU_DEP_4) | instskip(SKIP_4) | instid1(VALU_DEP_3)
	v_mov_b32_e32 v10, v7
	s_lshl_b64 s[2:3], s[20:21], 3
	s_add_i32 s1, s1, s17
	s_mul_i32 s0, s14, s22
	v_add_co_ci_u32_e32 v14, vcc_lo, 0, v14, vcc_lo
	v_mov_b32_e32 v12, v15
	s_lshl_b64 s[4:5], s[10:11], 3
	v_lshlrev_b64 v[7:8], 3, v[9:10]
	s_add_u32 s2, s12, s2
	s_addc_u32 s3, s15, s3
	s_lshl_b64 s[0:1], s[0:1], 3
	v_add_co_u32 v9, vcc_lo, v13, s4
	v_lshlrev_b64 v[11:12], 3, v[11:12]
	s_add_u32 s0, s2, s0
	v_add_co_ci_u32_e32 v10, vcc_lo, s5, v14, vcc_lo
	s_addc_u32 s1, s3, s1
	v_add_co_u32 v7, vcc_lo, s0, v7
	v_add_co_ci_u32_e32 v8, vcc_lo, s1, v8, vcc_lo
	v_add_co_u32 v11, vcc_lo, s0, v11
	v_add_co_ci_u32_e32 v12, vcc_lo, s1, v12, vcc_lo
	global_load_b64 v[15:16], v[13:14], off
	global_load_b64 v[17:18], v[9:10], off offset:256
	s_clause 0x1
	global_load_b64 v[7:8], v[7:8], off
	global_load_b64 v[11:12], v[11:12], off
	s_clause 0x1
	global_load_b64 v[19:20], v[9:10], off
	global_load_b64 v[21:22], v[13:14], off offset:256
	s_waitcnt vmcnt(7)
	v_mul_f64 v[3:4], v[1:2], v[3:4]
	s_waitcnt vmcnt(6)
	v_mul_f64 v[0:1], v[1:2], v[5:6]
	s_waitcnt vmcnt(3)
	s_delay_alu instid0(VALU_DEP_2) | instskip(SKIP_3) | instid1(VALU_DEP_3)
	v_fma_f64 v[5:6], v[3:4], v[7:8], v[15:16]
	s_waitcnt vmcnt(1)
	v_fma_f64 v[2:3], v[3:4], v[11:12], v[19:20]
	s_waitcnt vmcnt(0)
	v_fma_f64 v[7:8], v[0:1], v[7:8], v[21:22]
	v_fma_f64 v[0:1], v[0:1], v[11:12], v[17:18]
	global_store_b64 v[13:14], v[5:6], off
	s_clause 0x1
	global_store_b64 v[9:10], v[2:3], off
	global_store_b64 v[13:14], v[7:8], off offset:256
	global_store_b64 v[9:10], v[0:1], off offset:256
.LBB7_4:
	s_nop 0
	s_sendmsg sendmsg(MSG_DEALLOC_VGPRS)
	s_endpgm
	.section	.rodata,"a",@progbits
	.p2align	6, 0x0
	.amdhsa_kernel _ZL34rocblas_ger_double_buffered_kernelILb0ELi64ELi16ELi2Ed24rocblas_internal_val_ptrIdEPKdPdEvbiiT4_lT5_lllS6_lllT6_lmli
		.amdhsa_group_segment_fixed_size 0
		.amdhsa_private_segment_fixed_size 0
		.amdhsa_kernarg_size 132
		.amdhsa_user_sgpr_count 13
		.amdhsa_user_sgpr_dispatch_ptr 0
		.amdhsa_user_sgpr_queue_ptr 0
		.amdhsa_user_sgpr_kernarg_segment_ptr 1
		.amdhsa_user_sgpr_dispatch_id 0
		.amdhsa_user_sgpr_private_segment_size 0
		.amdhsa_wavefront_size32 1
		.amdhsa_uses_dynamic_stack 0
		.amdhsa_enable_private_segment 0
		.amdhsa_system_sgpr_workgroup_id_x 1
		.amdhsa_system_sgpr_workgroup_id_y 1
		.amdhsa_system_sgpr_workgroup_id_z 1
		.amdhsa_system_sgpr_workgroup_info 0
		.amdhsa_system_vgpr_workitem_id 1
		.amdhsa_next_free_vgpr 23
		.amdhsa_next_free_sgpr 28
		.amdhsa_reserve_vcc 1
		.amdhsa_float_round_mode_32 0
		.amdhsa_float_round_mode_16_64 0
		.amdhsa_float_denorm_mode_32 3
		.amdhsa_float_denorm_mode_16_64 3
		.amdhsa_dx10_clamp 1
		.amdhsa_ieee_mode 1
		.amdhsa_fp16_overflow 0
		.amdhsa_workgroup_processor_mode 1
		.amdhsa_memory_ordered 1
		.amdhsa_forward_progress 0
		.amdhsa_shared_vgpr_count 0
		.amdhsa_exception_fp_ieee_invalid_op 0
		.amdhsa_exception_fp_denorm_src 0
		.amdhsa_exception_fp_ieee_div_zero 0
		.amdhsa_exception_fp_ieee_overflow 0
		.amdhsa_exception_fp_ieee_underflow 0
		.amdhsa_exception_fp_ieee_inexact 0
		.amdhsa_exception_int_div_zero 0
	.end_amdhsa_kernel
	.section	.text._ZL34rocblas_ger_double_buffered_kernelILb0ELi64ELi16ELi2Ed24rocblas_internal_val_ptrIdEPKdPdEvbiiT4_lT5_lllS6_lllT6_lmli,"axG",@progbits,_ZL34rocblas_ger_double_buffered_kernelILb0ELi64ELi16ELi2Ed24rocblas_internal_val_ptrIdEPKdPdEvbiiT4_lT5_lllS6_lllT6_lmli,comdat
.Lfunc_end7:
	.size	_ZL34rocblas_ger_double_buffered_kernelILb0ELi64ELi16ELi2Ed24rocblas_internal_val_ptrIdEPKdPdEvbiiT4_lT5_lllS6_lllT6_lmli, .Lfunc_end7-_ZL34rocblas_ger_double_buffered_kernelILb0ELi64ELi16ELi2Ed24rocblas_internal_val_ptrIdEPKdPdEvbiiT4_lT5_lllS6_lllT6_lmli
                                        ; -- End function
	.section	.AMDGPU.csdata,"",@progbits
; Kernel info:
; codeLenInByte = 956
; NumSgprs: 30
; NumVgprs: 23
; ScratchSize: 0
; MemoryBound: 0
; FloatMode: 240
; IeeeMode: 1
; LDSByteSize: 0 bytes/workgroup (compile time only)
; SGPRBlocks: 3
; VGPRBlocks: 2
; NumSGPRsForWavesPerEU: 30
; NumVGPRsForWavesPerEU: 23
; Occupancy: 16
; WaveLimiterHint : 0
; COMPUTE_PGM_RSRC2:SCRATCH_EN: 0
; COMPUTE_PGM_RSRC2:USER_SGPR: 13
; COMPUTE_PGM_RSRC2:TRAP_HANDLER: 0
; COMPUTE_PGM_RSRC2:TGID_X_EN: 1
; COMPUTE_PGM_RSRC2:TGID_Y_EN: 1
; COMPUTE_PGM_RSRC2:TGID_Z_EN: 1
; COMPUTE_PGM_RSRC2:TIDIG_COMP_CNT: 1
	.section	.text._ZL26rocblas_sger_gfx942_kernelILi256EdPKdS1_PdEviiT1_lT2_lllS4_lllT3_lll,"axG",@progbits,_ZL26rocblas_sger_gfx942_kernelILi256EdPKdS1_PdEviiT1_lT2_lllS4_lllT3_lll,comdat
	.globl	_ZL26rocblas_sger_gfx942_kernelILi256EdPKdS1_PdEviiT1_lT2_lllS4_lllT3_lll ; -- Begin function _ZL26rocblas_sger_gfx942_kernelILi256EdPKdS1_PdEviiT1_lT2_lllS4_lllT3_lll
	.p2align	8
	.type	_ZL26rocblas_sger_gfx942_kernelILi256EdPKdS1_PdEviiT1_lT2_lllS4_lllT3_lll,@function
_ZL26rocblas_sger_gfx942_kernelILi256EdPKdS1_PdEviiT1_lT2_lllS4_lllT3_lll: ; @_ZL26rocblas_sger_gfx942_kernelILi256EdPKdS1_PdEviiT1_lT2_lllS4_lllT3_lll
; %bb.0:
	s_endpgm
	.section	.rodata,"a",@progbits
	.p2align	6, 0x0
	.amdhsa_kernel _ZL26rocblas_sger_gfx942_kernelILi256EdPKdS1_PdEviiT1_lT2_lllS4_lllT3_lll
		.amdhsa_group_segment_fixed_size 0
		.amdhsa_private_segment_fixed_size 0
		.amdhsa_kernarg_size 120
		.amdhsa_user_sgpr_count 15
		.amdhsa_user_sgpr_dispatch_ptr 0
		.amdhsa_user_sgpr_queue_ptr 0
		.amdhsa_user_sgpr_kernarg_segment_ptr 1
		.amdhsa_user_sgpr_dispatch_id 0
		.amdhsa_user_sgpr_private_segment_size 0
		.amdhsa_wavefront_size32 1
		.amdhsa_uses_dynamic_stack 0
		.amdhsa_enable_private_segment 0
		.amdhsa_system_sgpr_workgroup_id_x 1
		.amdhsa_system_sgpr_workgroup_id_y 0
		.amdhsa_system_sgpr_workgroup_id_z 0
		.amdhsa_system_sgpr_workgroup_info 0
		.amdhsa_system_vgpr_workitem_id 0
		.amdhsa_next_free_vgpr 1
		.amdhsa_next_free_sgpr 1
		.amdhsa_reserve_vcc 0
		.amdhsa_float_round_mode_32 0
		.amdhsa_float_round_mode_16_64 0
		.amdhsa_float_denorm_mode_32 3
		.amdhsa_float_denorm_mode_16_64 3
		.amdhsa_dx10_clamp 1
		.amdhsa_ieee_mode 1
		.amdhsa_fp16_overflow 0
		.amdhsa_workgroup_processor_mode 1
		.amdhsa_memory_ordered 1
		.amdhsa_forward_progress 0
		.amdhsa_shared_vgpr_count 0
		.amdhsa_exception_fp_ieee_invalid_op 0
		.amdhsa_exception_fp_denorm_src 0
		.amdhsa_exception_fp_ieee_div_zero 0
		.amdhsa_exception_fp_ieee_overflow 0
		.amdhsa_exception_fp_ieee_underflow 0
		.amdhsa_exception_fp_ieee_inexact 0
		.amdhsa_exception_int_div_zero 0
	.end_amdhsa_kernel
	.section	.text._ZL26rocblas_sger_gfx942_kernelILi256EdPKdS1_PdEviiT1_lT2_lllS4_lllT3_lll,"axG",@progbits,_ZL26rocblas_sger_gfx942_kernelILi256EdPKdS1_PdEviiT1_lT2_lllS4_lllT3_lll,comdat
.Lfunc_end8:
	.size	_ZL26rocblas_sger_gfx942_kernelILi256EdPKdS1_PdEviiT1_lT2_lllS4_lllT3_lll, .Lfunc_end8-_ZL26rocblas_sger_gfx942_kernelILi256EdPKdS1_PdEviiT1_lT2_lllS4_lllT3_lll
                                        ; -- End function
	.section	.AMDGPU.csdata,"",@progbits
; Kernel info:
; codeLenInByte = 4
; NumSgprs: 0
; NumVgprs: 0
; ScratchSize: 0
; MemoryBound: 0
; FloatMode: 240
; IeeeMode: 1
; LDSByteSize: 0 bytes/workgroup (compile time only)
; SGPRBlocks: 0
; VGPRBlocks: 0
; NumSGPRsForWavesPerEU: 1
; NumVGPRsForWavesPerEU: 1
; Occupancy: 16
; WaveLimiterHint : 0
; COMPUTE_PGM_RSRC2:SCRATCH_EN: 0
; COMPUTE_PGM_RSRC2:USER_SGPR: 15
; COMPUTE_PGM_RSRC2:TRAP_HANDLER: 0
; COMPUTE_PGM_RSRC2:TGID_X_EN: 1
; COMPUTE_PGM_RSRC2:TGID_Y_EN: 0
; COMPUTE_PGM_RSRC2:TGID_Z_EN: 0
; COMPUTE_PGM_RSRC2:TIDIG_COMP_CNT: 0
	.section	.text._ZL26rocblas_sger_gfx942_kernelILi256EddPKdPdEviiT1_lT2_lllS4_lllT3_lll,"axG",@progbits,_ZL26rocblas_sger_gfx942_kernelILi256EddPKdPdEviiT1_lT2_lllS4_lllT3_lll,comdat
	.globl	_ZL26rocblas_sger_gfx942_kernelILi256EddPKdPdEviiT1_lT2_lllS4_lllT3_lll ; -- Begin function _ZL26rocblas_sger_gfx942_kernelILi256EddPKdPdEviiT1_lT2_lllS4_lllT3_lll
	.p2align	8
	.type	_ZL26rocblas_sger_gfx942_kernelILi256EddPKdPdEviiT1_lT2_lllS4_lllT3_lll,@function
_ZL26rocblas_sger_gfx942_kernelILi256EddPKdPdEviiT1_lT2_lllS4_lllT3_lll: ; @_ZL26rocblas_sger_gfx942_kernelILi256EddPKdPdEviiT1_lT2_lllS4_lllT3_lll
; %bb.0:
	s_endpgm
	.section	.rodata,"a",@progbits
	.p2align	6, 0x0
	.amdhsa_kernel _ZL26rocblas_sger_gfx942_kernelILi256EddPKdPdEviiT1_lT2_lllS4_lllT3_lll
		.amdhsa_group_segment_fixed_size 0
		.amdhsa_private_segment_fixed_size 0
		.amdhsa_kernarg_size 120
		.amdhsa_user_sgpr_count 15
		.amdhsa_user_sgpr_dispatch_ptr 0
		.amdhsa_user_sgpr_queue_ptr 0
		.amdhsa_user_sgpr_kernarg_segment_ptr 1
		.amdhsa_user_sgpr_dispatch_id 0
		.amdhsa_user_sgpr_private_segment_size 0
		.amdhsa_wavefront_size32 1
		.amdhsa_uses_dynamic_stack 0
		.amdhsa_enable_private_segment 0
		.amdhsa_system_sgpr_workgroup_id_x 1
		.amdhsa_system_sgpr_workgroup_id_y 0
		.amdhsa_system_sgpr_workgroup_id_z 0
		.amdhsa_system_sgpr_workgroup_info 0
		.amdhsa_system_vgpr_workitem_id 0
		.amdhsa_next_free_vgpr 1
		.amdhsa_next_free_sgpr 1
		.amdhsa_reserve_vcc 0
		.amdhsa_float_round_mode_32 0
		.amdhsa_float_round_mode_16_64 0
		.amdhsa_float_denorm_mode_32 3
		.amdhsa_float_denorm_mode_16_64 3
		.amdhsa_dx10_clamp 1
		.amdhsa_ieee_mode 1
		.amdhsa_fp16_overflow 0
		.amdhsa_workgroup_processor_mode 1
		.amdhsa_memory_ordered 1
		.amdhsa_forward_progress 0
		.amdhsa_shared_vgpr_count 0
		.amdhsa_exception_fp_ieee_invalid_op 0
		.amdhsa_exception_fp_denorm_src 0
		.amdhsa_exception_fp_ieee_div_zero 0
		.amdhsa_exception_fp_ieee_overflow 0
		.amdhsa_exception_fp_ieee_underflow 0
		.amdhsa_exception_fp_ieee_inexact 0
		.amdhsa_exception_int_div_zero 0
	.end_amdhsa_kernel
	.section	.text._ZL26rocblas_sger_gfx942_kernelILi256EddPKdPdEviiT1_lT2_lllS4_lllT3_lll,"axG",@progbits,_ZL26rocblas_sger_gfx942_kernelILi256EddPKdPdEviiT1_lT2_lllS4_lllT3_lll,comdat
.Lfunc_end9:
	.size	_ZL26rocblas_sger_gfx942_kernelILi256EddPKdPdEviiT1_lT2_lllS4_lllT3_lll, .Lfunc_end9-_ZL26rocblas_sger_gfx942_kernelILi256EddPKdPdEviiT1_lT2_lllS4_lllT3_lll
                                        ; -- End function
	.section	.AMDGPU.csdata,"",@progbits
; Kernel info:
; codeLenInByte = 4
; NumSgprs: 0
; NumVgprs: 0
; ScratchSize: 0
; MemoryBound: 0
; FloatMode: 240
; IeeeMode: 1
; LDSByteSize: 0 bytes/workgroup (compile time only)
; SGPRBlocks: 0
; VGPRBlocks: 0
; NumSGPRsForWavesPerEU: 1
; NumVGPRsForWavesPerEU: 1
; Occupancy: 16
; WaveLimiterHint : 0
; COMPUTE_PGM_RSRC2:SCRATCH_EN: 0
; COMPUTE_PGM_RSRC2:USER_SGPR: 15
; COMPUTE_PGM_RSRC2:TRAP_HANDLER: 0
; COMPUTE_PGM_RSRC2:TGID_X_EN: 1
; COMPUTE_PGM_RSRC2:TGID_Y_EN: 0
; COMPUTE_PGM_RSRC2:TGID_Z_EN: 0
; COMPUTE_PGM_RSRC2:TIDIG_COMP_CNT: 0
	.section	.text._ZL19rocblas_sger_kernelILi1024EdPKdS1_PdEviiT1_lT2_lllS4_lllT3_lmli,"axG",@progbits,_ZL19rocblas_sger_kernelILi1024EdPKdS1_PdEviiT1_lT2_lllS4_lllT3_lmli,comdat
	.globl	_ZL19rocblas_sger_kernelILi1024EdPKdS1_PdEviiT1_lT2_lllS4_lllT3_lmli ; -- Begin function _ZL19rocblas_sger_kernelILi1024EdPKdS1_PdEviiT1_lT2_lllS4_lllT3_lmli
	.p2align	8
	.type	_ZL19rocblas_sger_kernelILi1024EdPKdS1_PdEviiT1_lT2_lllS4_lllT3_lmli,@function
_ZL19rocblas_sger_kernelILi1024EdPKdS1_PdEviiT1_lT2_lllS4_lllT3_lmli: ; @_ZL19rocblas_sger_kernelILi1024EdPKdS1_PdEviiT1_lT2_lllS4_lllT3_lmli
; %bb.0:
	s_load_b128 s[4:7], s[0:1], 0x8
	s_waitcnt lgkmcnt(0)
	s_mul_i32 s2, s15, s7
	s_mul_hi_u32 s3, s15, s6
	s_delay_alu instid0(SALU_CYCLE_1) | instskip(SKIP_1) | instid1(SALU_CYCLE_1)
	s_add_i32 s3, s3, s2
	s_mul_i32 s2, s15, s6
	s_lshl_b64 s[2:3], s[2:3], 3
	s_delay_alu instid0(SALU_CYCLE_1) | instskip(SKIP_4) | instid1(VALU_DEP_1)
	s_add_u32 s2, s4, s2
	s_addc_u32 s3, s5, s3
	s_load_b64 s[2:3], s[2:3], 0x0
	s_waitcnt lgkmcnt(0)
	v_cmp_eq_f64_e64 s4, s[2:3], 0
	s_and_b32 vcc_lo, exec_lo, s4
	s_cbranch_vccnz .LBB10_4
; %bb.1:
	s_load_b32 s12, s[0:1], 0x0
	s_waitcnt lgkmcnt(0)
	v_cmp_gt_i32_e32 vcc_lo, s12, v0
	s_and_saveexec_b32 s4, vcc_lo
	s_cbranch_execz .LBB10_4
; %bb.2:
	s_clause 0x2
	s_load_b256 s[16:23], s[0:1], 0x50
	s_load_b64 s[24:25], s[0:1], 0x70
	s_load_b256 s[4:11], s[0:1], 0x30
	v_cndmask_b32_e32 v4, 0, v0, vcc_lo
	s_waitcnt lgkmcnt(0)
	s_mul_i32 s13, s15, s17
	s_mul_hi_u32 s17, s15, s16
	s_mul_i32 s16, s15, s16
	s_add_i32 s17, s17, s13
	s_mul_i32 s13, s15, s25
	s_lshl_b64 s[16:17], s[16:17], 3
	s_mul_hi_u32 s25, s15, s24
	s_add_u32 s16, s6, s16
	s_addc_u32 s17, s7, s17
	s_lshl_b64 s[6:7], s[8:9], 3
	s_mul_i32 s8, s15, s24
	s_add_u32 s16, s16, s6
	s_addc_u32 s17, s17, s7
	s_add_i32 s9, s25, s13
	s_mul_i32 s13, s14, s23
	s_lshl_b64 s[6:7], s[8:9], 3
	s_mul_hi_u32 s9, s14, s22
	s_add_u32 s18, s18, s6
	s_addc_u32 s19, s19, s7
	s_lshl_b64 s[6:7], s[20:21], 3
	s_mul_i32 s8, s14, s22
	s_add_u32 s18, s18, s6
	s_addc_u32 s19, s19, s7
	s_ashr_i32 s20, s14, 31
	s_add_i32 s6, s9, s13
	s_mul_i32 s7, s20, s22
	s_mul_i32 s11, s14, s11
	s_add_i32 s9, s6, s7
	s_mul_hi_u32 s13, s14, s10
	s_lshl_b64 s[6:7], s[8:9], 3
	s_mul_i32 s20, s20, s10
	s_add_u32 s18, s6, s18
	s_addc_u32 s19, s7, s19
	s_add_i32 s6, s13, s11
	s_delay_alu instid0(SALU_CYCLE_1)
	s_add_i32 s7, s6, s20
	s_mul_i32 s6, s14, s10
	s_load_b128 s[8:11], s[0:1], 0x20
	s_lshl_b64 s[6:7], s[6:7], 3
	s_load_b64 s[0:1], s[0:1], 0x18
	s_add_u32 s6, s16, s6
	s_addc_u32 s7, s17, s7
	s_load_b64 s[6:7], s[6:7], 0x0
	s_waitcnt lgkmcnt(0)
	v_mad_u64_u32 v[5:6], null, s10, v0, 0
	v_mul_f64 v[1:2], s[2:3], s[6:7]
	s_mul_i32 s2, s5, s15
	s_delay_alu instid0(VALU_DEP_2) | instskip(SKIP_1) | instid1(SALU_CYCLE_1)
	v_mov_b32_e32 v3, v6
	s_mul_hi_u32 s3, s4, s15
	s_add_i32 s3, s3, s2
	s_mul_i32 s2, s4, s15
	s_delay_alu instid0(VALU_DEP_1) | instskip(SKIP_2) | instid1(VALU_DEP_1)
	v_mad_u64_u32 v[6:7], null, s11, v0, v[3:4]
	v_lshlrev_b32_e32 v3, 3, v4
	s_lshl_b64 s[2:3], s[2:3], 3
	v_add_co_u32 v3, s4, s18, v3
	s_delay_alu instid0(VALU_DEP_1) | instskip(SKIP_1) | instid1(VALU_DEP_4)
	v_add_co_ci_u32_e64 v4, null, s19, 0, s4
	s_lshl_b64 s[4:5], s[8:9], 3
	v_lshlrev_b64 v[5:6], 3, v[5:6]
	s_add_u32 s0, s0, s4
	s_addc_u32 s1, s1, s5
	s_add_u32 s0, s0, s2
	s_addc_u32 s1, s1, s3
	s_lshl_b64 s[2:3], s[10:11], 13
	v_add_co_u32 v5, vcc_lo, s0, v5
	v_add_co_ci_u32_e32 v6, vcc_lo, s1, v6, vcc_lo
	s_mov_b32 s1, 0
	.p2align	6
.LBB10_3:                               ; =>This Inner Loop Header: Depth=1
	global_load_b64 v[7:8], v[5:6], off
	global_load_b64 v[9:10], v[3:4], off
	v_add_nc_u32_e32 v0, 0x400, v0
	v_add_co_u32 v5, vcc_lo, v5, s2
	v_add_co_ci_u32_e32 v6, vcc_lo, s3, v6, vcc_lo
	s_delay_alu instid0(VALU_DEP_3)
	v_cmp_le_i32_e32 vcc_lo, s12, v0
	s_or_b32 s1, vcc_lo, s1
	s_waitcnt vmcnt(0)
	v_fma_f64 v[7:8], v[1:2], v[7:8], v[9:10]
	global_store_b64 v[3:4], v[7:8], off
	v_add_co_u32 v3, s0, 0x2000, v3
	s_delay_alu instid0(VALU_DEP_1)
	v_add_co_ci_u32_e64 v4, s0, 0, v4, s0
	s_and_not1_b32 exec_lo, exec_lo, s1
	s_cbranch_execnz .LBB10_3
.LBB10_4:
	s_nop 0
	s_sendmsg sendmsg(MSG_DEALLOC_VGPRS)
	s_endpgm
	.section	.rodata,"a",@progbits
	.p2align	6, 0x0
	.amdhsa_kernel _ZL19rocblas_sger_kernelILi1024EdPKdS1_PdEviiT1_lT2_lllS4_lllT3_lmli
		.amdhsa_group_segment_fixed_size 0
		.amdhsa_private_segment_fixed_size 0
		.amdhsa_kernarg_size 124
		.amdhsa_user_sgpr_count 14
		.amdhsa_user_sgpr_dispatch_ptr 0
		.amdhsa_user_sgpr_queue_ptr 0
		.amdhsa_user_sgpr_kernarg_segment_ptr 1
		.amdhsa_user_sgpr_dispatch_id 0
		.amdhsa_user_sgpr_private_segment_size 0
		.amdhsa_wavefront_size32 1
		.amdhsa_uses_dynamic_stack 0
		.amdhsa_enable_private_segment 0
		.amdhsa_system_sgpr_workgroup_id_x 1
		.amdhsa_system_sgpr_workgroup_id_y 0
		.amdhsa_system_sgpr_workgroup_id_z 1
		.amdhsa_system_sgpr_workgroup_info 0
		.amdhsa_system_vgpr_workitem_id 0
		.amdhsa_next_free_vgpr 11
		.amdhsa_next_free_sgpr 26
		.amdhsa_reserve_vcc 1
		.amdhsa_float_round_mode_32 0
		.amdhsa_float_round_mode_16_64 0
		.amdhsa_float_denorm_mode_32 3
		.amdhsa_float_denorm_mode_16_64 3
		.amdhsa_dx10_clamp 1
		.amdhsa_ieee_mode 1
		.amdhsa_fp16_overflow 0
		.amdhsa_workgroup_processor_mode 1
		.amdhsa_memory_ordered 1
		.amdhsa_forward_progress 0
		.amdhsa_shared_vgpr_count 0
		.amdhsa_exception_fp_ieee_invalid_op 0
		.amdhsa_exception_fp_denorm_src 0
		.amdhsa_exception_fp_ieee_div_zero 0
		.amdhsa_exception_fp_ieee_overflow 0
		.amdhsa_exception_fp_ieee_underflow 0
		.amdhsa_exception_fp_ieee_inexact 0
		.amdhsa_exception_int_div_zero 0
	.end_amdhsa_kernel
	.section	.text._ZL19rocblas_sger_kernelILi1024EdPKdS1_PdEviiT1_lT2_lllS4_lllT3_lmli,"axG",@progbits,_ZL19rocblas_sger_kernelILi1024EdPKdS1_PdEviiT1_lT2_lllS4_lllT3_lmli,comdat
.Lfunc_end10:
	.size	_ZL19rocblas_sger_kernelILi1024EdPKdS1_PdEviiT1_lT2_lllS4_lllT3_lmli, .Lfunc_end10-_ZL19rocblas_sger_kernelILi1024EdPKdS1_PdEviiT1_lT2_lllS4_lllT3_lmli
                                        ; -- End function
	.section	.AMDGPU.csdata,"",@progbits
; Kernel info:
; codeLenInByte = 564
; NumSgprs: 28
; NumVgprs: 11
; ScratchSize: 0
; MemoryBound: 0
; FloatMode: 240
; IeeeMode: 1
; LDSByteSize: 0 bytes/workgroup (compile time only)
; SGPRBlocks: 3
; VGPRBlocks: 1
; NumSGPRsForWavesPerEU: 28
; NumVGPRsForWavesPerEU: 11
; Occupancy: 16
; WaveLimiterHint : 0
; COMPUTE_PGM_RSRC2:SCRATCH_EN: 0
; COMPUTE_PGM_RSRC2:USER_SGPR: 14
; COMPUTE_PGM_RSRC2:TRAP_HANDLER: 0
; COMPUTE_PGM_RSRC2:TGID_X_EN: 1
; COMPUTE_PGM_RSRC2:TGID_Y_EN: 0
; COMPUTE_PGM_RSRC2:TGID_Z_EN: 1
; COMPUTE_PGM_RSRC2:TIDIG_COMP_CNT: 0
	.section	.text._ZL19rocblas_sger_kernelILi1024EddPKdPdEviiT1_lT2_lllS4_lllT3_lmli,"axG",@progbits,_ZL19rocblas_sger_kernelILi1024EddPKdPdEviiT1_lT2_lllS4_lllT3_lmli,comdat
	.globl	_ZL19rocblas_sger_kernelILi1024EddPKdPdEviiT1_lT2_lllS4_lllT3_lmli ; -- Begin function _ZL19rocblas_sger_kernelILi1024EddPKdPdEviiT1_lT2_lllS4_lllT3_lmli
	.p2align	8
	.type	_ZL19rocblas_sger_kernelILi1024EddPKdPdEviiT1_lT2_lllS4_lllT3_lmli,@function
_ZL19rocblas_sger_kernelILi1024EddPKdPdEviiT1_lT2_lllS4_lllT3_lmli: ; @_ZL19rocblas_sger_kernelILi1024EddPKdPdEviiT1_lT2_lllS4_lllT3_lmli
; %bb.0:
	s_load_b64 s[2:3], s[0:1], 0x8
	s_waitcnt lgkmcnt(0)
	v_cmp_eq_f64_e64 s4, s[2:3], 0
	s_delay_alu instid0(VALU_DEP_1)
	s_and_b32 vcc_lo, exec_lo, s4
	s_cbranch_vccnz .LBB11_4
; %bb.1:
	s_load_b32 s12, s[0:1], 0x0
	s_waitcnt lgkmcnt(0)
	v_cmp_gt_i32_e32 vcc_lo, s12, v0
	s_and_saveexec_b32 s4, vcc_lo
	s_cbranch_execz .LBB11_4
; %bb.2:
	s_clause 0x2
	s_load_b256 s[16:23], s[0:1], 0x50
	s_load_b64 s[24:25], s[0:1], 0x70
	s_load_b256 s[4:11], s[0:1], 0x30
	v_cndmask_b32_e32 v4, 0, v0, vcc_lo
	s_waitcnt lgkmcnt(0)
	s_mul_i32 s13, s15, s17
	s_mul_hi_u32 s17, s15, s16
	s_mul_i32 s16, s15, s16
	s_add_i32 s17, s17, s13
	s_mul_i32 s13, s15, s25
	s_lshl_b64 s[16:17], s[16:17], 3
	s_mul_hi_u32 s25, s15, s24
	s_add_u32 s16, s6, s16
	s_addc_u32 s17, s7, s17
	s_lshl_b64 s[6:7], s[8:9], 3
	s_mul_i32 s8, s15, s24
	s_add_u32 s16, s16, s6
	s_addc_u32 s17, s17, s7
	s_add_i32 s9, s25, s13
	s_mul_i32 s13, s14, s23
	s_lshl_b64 s[6:7], s[8:9], 3
	s_mul_hi_u32 s9, s14, s22
	s_add_u32 s18, s18, s6
	s_addc_u32 s19, s19, s7
	s_lshl_b64 s[6:7], s[20:21], 3
	s_mul_i32 s8, s14, s22
	s_add_u32 s18, s18, s6
	s_addc_u32 s19, s19, s7
	s_ashr_i32 s20, s14, 31
	s_add_i32 s6, s9, s13
	s_mul_i32 s7, s20, s22
	s_mul_i32 s11, s14, s11
	s_add_i32 s9, s6, s7
	s_mul_hi_u32 s13, s14, s10
	s_lshl_b64 s[6:7], s[8:9], 3
	s_mul_i32 s20, s20, s10
	s_add_u32 s18, s6, s18
	s_addc_u32 s19, s7, s19
	s_add_i32 s6, s13, s11
	s_delay_alu instid0(SALU_CYCLE_1)
	s_add_i32 s7, s6, s20
	s_mul_i32 s6, s14, s10
	s_load_b128 s[8:11], s[0:1], 0x20
	s_lshl_b64 s[6:7], s[6:7], 3
	s_load_b64 s[0:1], s[0:1], 0x18
	s_add_u32 s6, s16, s6
	s_addc_u32 s7, s17, s7
	s_load_b64 s[6:7], s[6:7], 0x0
	s_waitcnt lgkmcnt(0)
	v_mad_u64_u32 v[5:6], null, s10, v0, 0
	v_mul_f64 v[1:2], s[6:7], s[2:3]
	s_mul_i32 s2, s5, s15
	s_delay_alu instid0(VALU_DEP_2) | instskip(SKIP_1) | instid1(SALU_CYCLE_1)
	v_mov_b32_e32 v3, v6
	s_mul_hi_u32 s3, s4, s15
	s_add_i32 s3, s3, s2
	s_mul_i32 s2, s4, s15
	s_delay_alu instid0(VALU_DEP_1) | instskip(SKIP_2) | instid1(VALU_DEP_1)
	v_mad_u64_u32 v[6:7], null, s11, v0, v[3:4]
	v_lshlrev_b32_e32 v3, 3, v4
	s_lshl_b64 s[2:3], s[2:3], 3
	v_add_co_u32 v3, s4, s18, v3
	s_delay_alu instid0(VALU_DEP_1) | instskip(SKIP_1) | instid1(VALU_DEP_4)
	v_add_co_ci_u32_e64 v4, null, s19, 0, s4
	s_lshl_b64 s[4:5], s[8:9], 3
	v_lshlrev_b64 v[5:6], 3, v[5:6]
	s_add_u32 s0, s0, s4
	s_addc_u32 s1, s1, s5
	s_add_u32 s0, s0, s2
	s_addc_u32 s1, s1, s3
	s_lshl_b64 s[2:3], s[10:11], 13
	v_add_co_u32 v5, vcc_lo, s0, v5
	v_add_co_ci_u32_e32 v6, vcc_lo, s1, v6, vcc_lo
	s_mov_b32 s1, 0
	.p2align	6
.LBB11_3:                               ; =>This Inner Loop Header: Depth=1
	global_load_b64 v[7:8], v[5:6], off
	global_load_b64 v[9:10], v[3:4], off
	v_add_nc_u32_e32 v0, 0x400, v0
	v_add_co_u32 v5, vcc_lo, v5, s2
	v_add_co_ci_u32_e32 v6, vcc_lo, s3, v6, vcc_lo
	s_delay_alu instid0(VALU_DEP_3)
	v_cmp_le_i32_e32 vcc_lo, s12, v0
	s_or_b32 s1, vcc_lo, s1
	s_waitcnt vmcnt(0)
	v_fma_f64 v[7:8], v[1:2], v[7:8], v[9:10]
	global_store_b64 v[3:4], v[7:8], off
	v_add_co_u32 v3, s0, 0x2000, v3
	s_delay_alu instid0(VALU_DEP_1)
	v_add_co_ci_u32_e64 v4, s0, 0, v4, s0
	s_and_not1_b32 exec_lo, exec_lo, s1
	s_cbranch_execnz .LBB11_3
.LBB11_4:
	s_nop 0
	s_sendmsg sendmsg(MSG_DEALLOC_VGPRS)
	s_endpgm
	.section	.rodata,"a",@progbits
	.p2align	6, 0x0
	.amdhsa_kernel _ZL19rocblas_sger_kernelILi1024EddPKdPdEviiT1_lT2_lllS4_lllT3_lmli
		.amdhsa_group_segment_fixed_size 0
		.amdhsa_private_segment_fixed_size 0
		.amdhsa_kernarg_size 124
		.amdhsa_user_sgpr_count 14
		.amdhsa_user_sgpr_dispatch_ptr 0
		.amdhsa_user_sgpr_queue_ptr 0
		.amdhsa_user_sgpr_kernarg_segment_ptr 1
		.amdhsa_user_sgpr_dispatch_id 0
		.amdhsa_user_sgpr_private_segment_size 0
		.amdhsa_wavefront_size32 1
		.amdhsa_uses_dynamic_stack 0
		.amdhsa_enable_private_segment 0
		.amdhsa_system_sgpr_workgroup_id_x 1
		.amdhsa_system_sgpr_workgroup_id_y 0
		.amdhsa_system_sgpr_workgroup_id_z 1
		.amdhsa_system_sgpr_workgroup_info 0
		.amdhsa_system_vgpr_workitem_id 0
		.amdhsa_next_free_vgpr 11
		.amdhsa_next_free_sgpr 26
		.amdhsa_reserve_vcc 1
		.amdhsa_float_round_mode_32 0
		.amdhsa_float_round_mode_16_64 0
		.amdhsa_float_denorm_mode_32 3
		.amdhsa_float_denorm_mode_16_64 3
		.amdhsa_dx10_clamp 1
		.amdhsa_ieee_mode 1
		.amdhsa_fp16_overflow 0
		.amdhsa_workgroup_processor_mode 1
		.amdhsa_memory_ordered 1
		.amdhsa_forward_progress 0
		.amdhsa_shared_vgpr_count 0
		.amdhsa_exception_fp_ieee_invalid_op 0
		.amdhsa_exception_fp_denorm_src 0
		.amdhsa_exception_fp_ieee_div_zero 0
		.amdhsa_exception_fp_ieee_overflow 0
		.amdhsa_exception_fp_ieee_underflow 0
		.amdhsa_exception_fp_ieee_inexact 0
		.amdhsa_exception_int_div_zero 0
	.end_amdhsa_kernel
	.section	.text._ZL19rocblas_sger_kernelILi1024EddPKdPdEviiT1_lT2_lllS4_lllT3_lmli,"axG",@progbits,_ZL19rocblas_sger_kernelILi1024EddPKdPdEviiT1_lT2_lllS4_lllT3_lmli,comdat
.Lfunc_end11:
	.size	_ZL19rocblas_sger_kernelILi1024EddPKdPdEviiT1_lT2_lllS4_lllT3_lmli, .Lfunc_end11-_ZL19rocblas_sger_kernelILi1024EddPKdPdEviiT1_lT2_lllS4_lllT3_lmli
                                        ; -- End function
	.section	.AMDGPU.csdata,"",@progbits
; Kernel info:
; codeLenInByte = 520
; NumSgprs: 28
; NumVgprs: 11
; ScratchSize: 0
; MemoryBound: 0
; FloatMode: 240
; IeeeMode: 1
; LDSByteSize: 0 bytes/workgroup (compile time only)
; SGPRBlocks: 3
; VGPRBlocks: 1
; NumSGPRsForWavesPerEU: 28
; NumVGPRsForWavesPerEU: 11
; Occupancy: 16
; WaveLimiterHint : 0
; COMPUTE_PGM_RSRC2:SCRATCH_EN: 0
; COMPUTE_PGM_RSRC2:USER_SGPR: 14
; COMPUTE_PGM_RSRC2:TRAP_HANDLER: 0
; COMPUTE_PGM_RSRC2:TGID_X_EN: 1
; COMPUTE_PGM_RSRC2:TGID_Y_EN: 0
; COMPUTE_PGM_RSRC2:TGID_Z_EN: 1
; COMPUTE_PGM_RSRC2:TIDIG_COMP_CNT: 0
	.section	.text._ZL18rocblas_ger_kernelILi32ELi32ELi2ELb0EdPKdS1_PdEviiT4_lT5_lllS4_lllT6_lmli,"axG",@progbits,_ZL18rocblas_ger_kernelILi32ELi32ELi2ELb0EdPKdS1_PdEviiT4_lT5_lllS4_lllT6_lmli,comdat
	.globl	_ZL18rocblas_ger_kernelILi32ELi32ELi2ELb0EdPKdS1_PdEviiT4_lT5_lllS4_lllT6_lmli ; -- Begin function _ZL18rocblas_ger_kernelILi32ELi32ELi2ELb0EdPKdS1_PdEviiT4_lT5_lllS4_lllT6_lmli
	.p2align	8
	.type	_ZL18rocblas_ger_kernelILi32ELi32ELi2ELb0EdPKdS1_PdEviiT4_lT5_lllS4_lllT6_lmli,@function
_ZL18rocblas_ger_kernelILi32ELi32ELi2ELb0EdPKdS1_PdEviiT4_lT5_lllS4_lllT6_lmli: ; @_ZL18rocblas_ger_kernelILi32ELi32ELi2ELb0EdPKdS1_PdEviiT4_lT5_lllS4_lllT6_lmli
; %bb.0:
	s_clause 0x1
	s_load_b64 s[4:5], s[0:1], 0x0
	s_load_b128 s[8:11], s[0:1], 0x8
	s_waitcnt lgkmcnt(0)
	s_add_i32 s2, s4, -1
	s_mul_i32 s6, s15, s11
	s_ashr_i32 s3, s2, 31
	s_mul_hi_u32 s7, s15, s10
	s_lshr_b32 s3, s3, 27
	s_delay_alu instid0(SALU_CYCLE_1)
	s_add_i32 s11, s2, s3
	s_add_i32 s3, s7, s6
	s_mul_i32 s2, s15, s10
	s_ashr_i32 s6, s11, 5
	s_lshl_b64 s[2:3], s[2:3], 3
	s_add_i32 s11, s6, 1
	s_add_u32 s2, s8, s2
	s_addc_u32 s3, s9, s3
	v_cvt_f32_u32_e32 v1, s11
	s_load_b64 s[2:3], s[2:3], 0x0
	s_delay_alu instid0(VALU_DEP_1) | instskip(SKIP_2) | instid1(VALU_DEP_1)
	v_rcp_iflag_f32_e32 v1, v1
	s_waitcnt_depctr 0xfff
	v_mul_f32_e32 v1, 0x4f7ffffe, v1
	v_cvt_u32_f32_e32 v1, v1
	s_waitcnt lgkmcnt(0)
	v_cmp_eq_f64_e64 s8, s[2:3], 0
	s_delay_alu instid0(VALU_DEP_2) | instskip(NEXT) | instid1(VALU_DEP_2)
	v_readfirstlane_b32 s7, v1
	s_and_b32 vcc_lo, exec_lo, s8
	s_cbranch_vccnz .LBB12_14
; %bb.1:
	s_not_b32 s6, s6
	v_and_b32_e32 v3, 0x3ff, v0
	s_mul_i32 s6, s6, s7
	v_bfe_u32 v4, v0, 10, 10
	s_mul_hi_u32 s6, s7, s6
	s_delay_alu instid0(SALU_CYCLE_1) | instskip(NEXT) | instid1(SALU_CYCLE_1)
	s_add_i32 s7, s7, s6
	s_mul_hi_u32 s10, s14, s7
	s_clause 0x1
	s_load_b64 s[6:7], s[0:1], 0x58
	s_load_b64 s[8:9], s[0:1], 0x38
	s_mul_i32 s12, s10, s11
	s_add_i32 s13, s10, 1
	s_sub_i32 s12, s14, s12
	s_delay_alu instid0(SALU_CYCLE_1)
	s_sub_i32 s16, s12, s11
	s_cmp_ge_u32 s12, s11
	s_cselect_b32 s10, s13, s10
	s_cselect_b32 s12, s16, s12
	s_add_i32 s13, s10, 1
	s_cmp_ge_u32 s12, s11
	s_cselect_b32 s10, s13, s10
	s_delay_alu instid0(SALU_CYCLE_1) | instskip(NEXT) | instid1(SALU_CYCLE_1)
	s_mul_i32 s11, s10, s11
	s_sub_i32 s11, s14, s11
	s_delay_alu instid0(SALU_CYCLE_1)
	v_lshl_add_u32 v0, s11, 5, v3
	s_mov_b32 s11, exec_lo
	v_cmpx_eq_u32_e32 0, v4
	s_cbranch_execz .LBB12_5
; %bb.2:
	v_mov_b32_e32 v1, 0
	v_mov_b32_e32 v2, 0
	s_mov_b32 s12, exec_lo
	v_cmpx_gt_i32_e64 s4, v0
	s_cbranch_execz .LBB12_4
; %bb.3:
	s_clause 0x2
	s_load_b128 s[16:19], s[0:1], 0x20
	s_load_b64 s[20:21], s[0:1], 0x30
	s_load_b64 s[22:23], s[0:1], 0x18
	v_ashrrev_i32_e32 v1, 31, v0
	s_waitcnt lgkmcnt(0)
	v_mul_lo_u32 v5, v0, s19
	s_delay_alu instid0(VALU_DEP_2)
	v_mul_lo_u32 v6, v1, s18
	v_mad_u64_u32 v[1:2], null, v0, s18, 0
	s_mul_i32 s13, s15, s21
	s_mul_hi_u32 s14, s15, s20
	s_mul_i32 s18, s15, s20
	s_add_i32 s19, s14, s13
	s_delay_alu instid0(SALU_CYCLE_1) | instskip(NEXT) | instid1(VALU_DEP_1)
	s_lshl_b64 s[18:19], s[18:19], 3
	v_add3_u32 v2, v2, v5, v6
	s_add_u32 s13, s22, s18
	s_addc_u32 s14, s23, s19
	s_lshl_b64 s[16:17], s[16:17], 3
	s_delay_alu instid0(VALU_DEP_1) | instskip(SKIP_2) | instid1(VALU_DEP_1)
	v_lshlrev_b64 v[1:2], 3, v[1:2]
	s_add_u32 s13, s13, s16
	s_addc_u32 s14, s14, s17
	v_add_co_u32 v1, vcc_lo, s13, v1
	s_delay_alu instid0(VALU_DEP_2)
	v_add_co_ci_u32_e32 v2, vcc_lo, s14, v2, vcc_lo
	global_load_b64 v[1:2], v[1:2], off
.LBB12_4:
	s_or_b32 exec_lo, exec_lo, s12
	v_lshlrev_b32_e32 v5, 3, v3
	s_waitcnt vmcnt(0)
	ds_store_b64 v5, v[1:2] offset:512
.LBB12_5:
	s_or_b32 exec_lo, exec_lo, s11
	v_lshlrev_b32_e32 v5, 1, v4
	s_delay_alu instid0(VALU_DEP_1)
	v_lshl_add_u32 v4, s10, 6, v5
	s_mov_b32 s10, exec_lo
	v_cmpx_gt_u32_e32 2, v3
	s_cbranch_execz .LBB12_9
; %bb.6:
	v_mov_b32_e32 v1, 0
	v_or_b32_e32 v6, v4, v3
	v_mov_b32_e32 v2, 0
	s_mov_b32 s11, exec_lo
	s_delay_alu instid0(VALU_DEP_2)
	v_cmpx_gt_u32_e64 s5, v6
	s_cbranch_execz .LBB12_8
; %bb.7:
	s_clause 0x1
	s_load_b128 s[16:19], s[0:1], 0x40
	s_load_b64 s[12:13], s[0:1], 0x50
	s_waitcnt lgkmcnt(0)
	v_mad_u64_u32 v[1:2], null, v6, s18, 0
	s_mul_i32 s13, s15, s13
	s_mul_hi_u32 s14, s15, s12
	s_mul_i32 s12, s15, s12
	s_add_i32 s13, s14, s13
	s_delay_alu instid0(SALU_CYCLE_1) | instskip(NEXT) | instid1(VALU_DEP_1)
	s_lshl_b64 s[12:13], s[12:13], 3
	v_mad_u64_u32 v[7:8], null, v6, s19, v[2:3]
	s_add_u32 s12, s8, s12
	s_addc_u32 s13, s9, s13
	s_lshl_b64 s[8:9], s[16:17], 3
	s_delay_alu instid0(SALU_CYCLE_1) | instskip(SKIP_1) | instid1(VALU_DEP_1)
	s_add_u32 s8, s12, s8
	s_addc_u32 s9, s13, s9
	v_mov_b32_e32 v2, v7
	s_delay_alu instid0(VALU_DEP_1) | instskip(NEXT) | instid1(VALU_DEP_1)
	v_lshlrev_b64 v[1:2], 3, v[1:2]
	v_add_co_u32 v1, vcc_lo, s8, v1
	s_delay_alu instid0(VALU_DEP_2)
	v_add_co_ci_u32_e32 v2, vcc_lo, s9, v2, vcc_lo
	global_load_b64 v[1:2], v[1:2], off
.LBB12_8:
	s_or_b32 exec_lo, exec_lo, s11
	v_or_b32_e32 v6, v5, v3
	s_delay_alu instid0(VALU_DEP_1)
	v_lshlrev_b32_e32 v6, 3, v6
	s_waitcnt vmcnt(0)
	ds_store_b64 v6, v[1:2]
.LBB12_9:
	s_or_b32 exec_lo, exec_lo, s10
	v_cmp_gt_i32_e32 vcc_lo, s4, v0
	s_waitcnt lgkmcnt(0)
	s_barrier
	buffer_gl0_inv
	s_and_saveexec_b32 s4, vcc_lo
	s_cbranch_execz .LBB12_14
; %bb.10:
	v_lshlrev_b32_e32 v1, 3, v3
	s_load_b64 s[8:9], s[0:1], 0x70
	ds_load_b64 v[1:2], v1 offset:512
	s_waitcnt lgkmcnt(0)
	s_mul_i32 s4, s15, s9
	s_mul_hi_u32 s9, s15, s8
	s_mul_i32 s8, s15, s8
	s_add_i32 s9, s9, s4
	v_mul_f64 v[2:3], s[2:3], v[1:2]
	s_load_b128 s[0:3], s[0:1], 0x60
	v_ashrrev_i32_e32 v1, 31, v0
	s_lshl_b64 s[8:9], s[8:9], 3
	s_delay_alu instid0(SALU_CYCLE_1) | instskip(SKIP_1) | instid1(VALU_DEP_1)
	s_add_u32 s4, s6, s8
	s_addc_u32 s6, s7, s9
	v_lshlrev_b64 v[6:7], 3, v[0:1]
	v_lshlrev_b32_e32 v0, 3, v5
	s_waitcnt lgkmcnt(0)
	s_lshl_b64 s[0:1], s[0:1], 3
	s_delay_alu instid0(SALU_CYCLE_1)
	s_add_u32 s0, s4, s0
	s_addc_u32 s1, s6, s1
	v_add_co_u32 v1, vcc_lo, s0, v6
	v_add_co_ci_u32_e32 v6, vcc_lo, s1, v7, vcc_lo
	s_mov_b32 s0, exec_lo
	v_cmpx_gt_i32_e64 s5, v4
	s_cbranch_execz .LBB12_12
; %bb.11:
	v_ashrrev_i32_e32 v5, 31, v4
	v_mul_lo_u32 v9, v4, s3
	v_mad_u64_u32 v[7:8], null, v4, s2, 0
	ds_load_b64 v[11:12], v0
	v_mul_lo_u32 v5, v5, s2
	s_delay_alu instid0(VALU_DEP_1) | instskip(NEXT) | instid1(VALU_DEP_1)
	v_add3_u32 v8, v8, v9, v5
	v_lshlrev_b64 v[7:8], 3, v[7:8]
	s_delay_alu instid0(VALU_DEP_1) | instskip(NEXT) | instid1(VALU_DEP_2)
	v_add_co_u32 v7, vcc_lo, v1, v7
	v_add_co_ci_u32_e32 v8, vcc_lo, v6, v8, vcc_lo
	global_load_b64 v[9:10], v[7:8], off
	s_waitcnt vmcnt(0) lgkmcnt(0)
	v_fma_f64 v[9:10], v[2:3], v[11:12], v[9:10]
	global_store_b64 v[7:8], v[9:10], off
.LBB12_12:
	s_or_b32 exec_lo, exec_lo, s0
	v_or_b32_e32 v4, 1, v4
	s_delay_alu instid0(VALU_DEP_1)
	v_cmp_gt_i32_e32 vcc_lo, s5, v4
	s_and_b32 exec_lo, exec_lo, vcc_lo
	s_cbranch_execz .LBB12_14
; %bb.13:
	v_ashrrev_i32_e32 v5, 31, v4
	v_mul_lo_u32 v9, v4, s3
	v_mad_u64_u32 v[7:8], null, v4, s2, 0
	s_delay_alu instid0(VALU_DEP_3) | instskip(NEXT) | instid1(VALU_DEP_1)
	v_mul_lo_u32 v4, v5, s2
	v_add3_u32 v8, v8, v9, v4
	s_delay_alu instid0(VALU_DEP_1) | instskip(NEXT) | instid1(VALU_DEP_1)
	v_lshlrev_b64 v[4:5], 3, v[7:8]
	v_add_co_u32 v4, vcc_lo, v1, v4
	s_delay_alu instid0(VALU_DEP_2)
	v_add_co_ci_u32_e32 v5, vcc_lo, v6, v5, vcc_lo
	ds_load_b64 v[0:1], v0 offset:8
	global_load_b64 v[6:7], v[4:5], off
	s_waitcnt vmcnt(0) lgkmcnt(0)
	v_fma_f64 v[0:1], v[2:3], v[0:1], v[6:7]
	global_store_b64 v[4:5], v[0:1], off
.LBB12_14:
	s_nop 0
	s_sendmsg sendmsg(MSG_DEALLOC_VGPRS)
	s_endpgm
	.section	.rodata,"a",@progbits
	.p2align	6, 0x0
	.amdhsa_kernel _ZL18rocblas_ger_kernelILi32ELi32ELi2ELb0EdPKdS1_PdEviiT4_lT5_lllS4_lllT6_lmli
		.amdhsa_group_segment_fixed_size 768
		.amdhsa_private_segment_fixed_size 0
		.amdhsa_kernarg_size 124
		.amdhsa_user_sgpr_count 14
		.amdhsa_user_sgpr_dispatch_ptr 0
		.amdhsa_user_sgpr_queue_ptr 0
		.amdhsa_user_sgpr_kernarg_segment_ptr 1
		.amdhsa_user_sgpr_dispatch_id 0
		.amdhsa_user_sgpr_private_segment_size 0
		.amdhsa_wavefront_size32 1
		.amdhsa_uses_dynamic_stack 0
		.amdhsa_enable_private_segment 0
		.amdhsa_system_sgpr_workgroup_id_x 1
		.amdhsa_system_sgpr_workgroup_id_y 0
		.amdhsa_system_sgpr_workgroup_id_z 1
		.amdhsa_system_sgpr_workgroup_info 0
		.amdhsa_system_vgpr_workitem_id 1
		.amdhsa_next_free_vgpr 13
		.amdhsa_next_free_sgpr 24
		.amdhsa_reserve_vcc 1
		.amdhsa_float_round_mode_32 0
		.amdhsa_float_round_mode_16_64 0
		.amdhsa_float_denorm_mode_32 3
		.amdhsa_float_denorm_mode_16_64 3
		.amdhsa_dx10_clamp 1
		.amdhsa_ieee_mode 1
		.amdhsa_fp16_overflow 0
		.amdhsa_workgroup_processor_mode 1
		.amdhsa_memory_ordered 1
		.amdhsa_forward_progress 0
		.amdhsa_shared_vgpr_count 0
		.amdhsa_exception_fp_ieee_invalid_op 0
		.amdhsa_exception_fp_denorm_src 0
		.amdhsa_exception_fp_ieee_div_zero 0
		.amdhsa_exception_fp_ieee_overflow 0
		.amdhsa_exception_fp_ieee_underflow 0
		.amdhsa_exception_fp_ieee_inexact 0
		.amdhsa_exception_int_div_zero 0
	.end_amdhsa_kernel
	.section	.text._ZL18rocblas_ger_kernelILi32ELi32ELi2ELb0EdPKdS1_PdEviiT4_lT5_lllS4_lllT6_lmli,"axG",@progbits,_ZL18rocblas_ger_kernelILi32ELi32ELi2ELb0EdPKdS1_PdEviiT4_lT5_lllS4_lllT6_lmli,comdat
.Lfunc_end12:
	.size	_ZL18rocblas_ger_kernelILi32ELi32ELi2ELb0EdPKdS1_PdEviiT4_lT5_lllS4_lllT6_lmli, .Lfunc_end12-_ZL18rocblas_ger_kernelILi32ELi32ELi2ELb0EdPKdS1_PdEviiT4_lT5_lllS4_lllT6_lmli
                                        ; -- End function
	.section	.AMDGPU.csdata,"",@progbits
; Kernel info:
; codeLenInByte = 1108
; NumSgprs: 26
; NumVgprs: 13
; ScratchSize: 0
; MemoryBound: 0
; FloatMode: 240
; IeeeMode: 1
; LDSByteSize: 768 bytes/workgroup (compile time only)
; SGPRBlocks: 3
; VGPRBlocks: 1
; NumSGPRsForWavesPerEU: 26
; NumVGPRsForWavesPerEU: 13
; Occupancy: 16
; WaveLimiterHint : 0
; COMPUTE_PGM_RSRC2:SCRATCH_EN: 0
; COMPUTE_PGM_RSRC2:USER_SGPR: 14
; COMPUTE_PGM_RSRC2:TRAP_HANDLER: 0
; COMPUTE_PGM_RSRC2:TGID_X_EN: 1
; COMPUTE_PGM_RSRC2:TGID_Y_EN: 0
; COMPUTE_PGM_RSRC2:TGID_Z_EN: 1
; COMPUTE_PGM_RSRC2:TIDIG_COMP_CNT: 1
	.section	.text._ZL18rocblas_ger_kernelILi32ELi32ELi2ELb0EddPKdPdEviiT4_lT5_lllS4_lllT6_lmli,"axG",@progbits,_ZL18rocblas_ger_kernelILi32ELi32ELi2ELb0EddPKdPdEviiT4_lT5_lllS4_lllT6_lmli,comdat
	.globl	_ZL18rocblas_ger_kernelILi32ELi32ELi2ELb0EddPKdPdEviiT4_lT5_lllS4_lllT6_lmli ; -- Begin function _ZL18rocblas_ger_kernelILi32ELi32ELi2ELb0EddPKdPdEviiT4_lT5_lllS4_lllT6_lmli
	.p2align	8
	.type	_ZL18rocblas_ger_kernelILi32ELi32ELi2ELb0EddPKdPdEviiT4_lT5_lllS4_lllT6_lmli,@function
_ZL18rocblas_ger_kernelILi32ELi32ELi2ELb0EddPKdPdEviiT4_lT5_lllS4_lllT6_lmli: ; @_ZL18rocblas_ger_kernelILi32ELi32ELi2ELb0EddPKdPdEviiT4_lT5_lllS4_lllT6_lmli
; %bb.0:
	s_load_b128 s[4:7], s[0:1], 0x0
	s_waitcnt lgkmcnt(0)
	s_add_i32 s2, s4, -1
	v_cmp_eq_f64_e64 s8, s[6:7], 0
	s_ashr_i32 s3, s2, 31
	s_delay_alu instid0(SALU_CYCLE_1) | instskip(NEXT) | instid1(SALU_CYCLE_1)
	s_lshr_b32 s3, s3, 27
	s_add_i32 s2, s2, s3
	s_delay_alu instid0(SALU_CYCLE_1) | instskip(NEXT) | instid1(SALU_CYCLE_1)
	s_ashr_i32 s2, s2, 5
	s_add_i32 s11, s2, 1
	s_delay_alu instid0(SALU_CYCLE_1) | instskip(NEXT) | instid1(VALU_DEP_1)
	v_cvt_f32_u32_e32 v1, s11
	v_rcp_iflag_f32_e32 v1, v1
	s_waitcnt_depctr 0xfff
	v_mul_f32_e32 v1, 0x4f7ffffe, v1
	s_delay_alu instid0(VALU_DEP_1) | instskip(NEXT) | instid1(VALU_DEP_1)
	v_cvt_u32_f32_e32 v1, v1
	v_readfirstlane_b32 s3, v1
	s_and_b32 vcc_lo, exec_lo, s8
	s_cbranch_vccnz .LBB13_14
; %bb.1:
	s_not_b32 s2, s2
	v_and_b32_e32 v3, 0x3ff, v0
	s_mul_i32 s2, s2, s3
	v_bfe_u32 v4, v0, 10, 10
	s_mul_hi_u32 s2, s3, s2
	s_delay_alu instid0(SALU_CYCLE_1) | instskip(NEXT) | instid1(SALU_CYCLE_1)
	s_add_i32 s3, s3, s2
	s_mul_hi_u32 s10, s14, s3
	s_clause 0x1
	s_load_b64 s[8:9], s[0:1], 0x58
	s_load_b64 s[2:3], s[0:1], 0x38
	s_mul_i32 s12, s10, s11
	s_add_i32 s13, s10, 1
	s_sub_i32 s12, s14, s12
	s_delay_alu instid0(SALU_CYCLE_1)
	s_sub_i32 s16, s12, s11
	s_cmp_ge_u32 s12, s11
	s_cselect_b32 s10, s13, s10
	s_cselect_b32 s12, s16, s12
	s_add_i32 s13, s10, 1
	s_cmp_ge_u32 s12, s11
	s_cselect_b32 s10, s13, s10
	s_delay_alu instid0(SALU_CYCLE_1) | instskip(NEXT) | instid1(SALU_CYCLE_1)
	s_mul_i32 s11, s10, s11
	s_sub_i32 s11, s14, s11
	s_delay_alu instid0(SALU_CYCLE_1)
	v_lshl_add_u32 v0, s11, 5, v3
	s_mov_b32 s11, exec_lo
	v_cmpx_eq_u32_e32 0, v4
	s_cbranch_execz .LBB13_5
; %bb.2:
	v_mov_b32_e32 v1, 0
	v_mov_b32_e32 v2, 0
	s_mov_b32 s12, exec_lo
	v_cmpx_gt_i32_e64 s4, v0
	s_cbranch_execz .LBB13_4
; %bb.3:
	s_clause 0x2
	s_load_b128 s[16:19], s[0:1], 0x20
	s_load_b64 s[20:21], s[0:1], 0x30
	s_load_b64 s[22:23], s[0:1], 0x18
	v_ashrrev_i32_e32 v1, 31, v0
	s_waitcnt lgkmcnt(0)
	v_mul_lo_u32 v5, v0, s19
	s_delay_alu instid0(VALU_DEP_2)
	v_mul_lo_u32 v6, v1, s18
	v_mad_u64_u32 v[1:2], null, v0, s18, 0
	s_mul_i32 s13, s15, s21
	s_mul_hi_u32 s14, s15, s20
	s_mul_i32 s18, s15, s20
	s_add_i32 s19, s14, s13
	s_delay_alu instid0(SALU_CYCLE_1) | instskip(NEXT) | instid1(VALU_DEP_1)
	s_lshl_b64 s[18:19], s[18:19], 3
	v_add3_u32 v2, v2, v5, v6
	s_add_u32 s13, s22, s18
	s_addc_u32 s14, s23, s19
	s_lshl_b64 s[16:17], s[16:17], 3
	s_delay_alu instid0(VALU_DEP_1) | instskip(SKIP_2) | instid1(VALU_DEP_1)
	v_lshlrev_b64 v[1:2], 3, v[1:2]
	s_add_u32 s13, s13, s16
	s_addc_u32 s14, s14, s17
	v_add_co_u32 v1, vcc_lo, s13, v1
	s_delay_alu instid0(VALU_DEP_2)
	v_add_co_ci_u32_e32 v2, vcc_lo, s14, v2, vcc_lo
	global_load_b64 v[1:2], v[1:2], off
.LBB13_4:
	s_or_b32 exec_lo, exec_lo, s12
	v_lshlrev_b32_e32 v5, 3, v3
	s_waitcnt vmcnt(0)
	ds_store_b64 v5, v[1:2] offset:512
.LBB13_5:
	s_or_b32 exec_lo, exec_lo, s11
	v_lshlrev_b32_e32 v5, 1, v4
	s_delay_alu instid0(VALU_DEP_1)
	v_lshl_add_u32 v4, s10, 6, v5
	s_mov_b32 s10, exec_lo
	v_cmpx_gt_u32_e32 2, v3
	s_cbranch_execz .LBB13_9
; %bb.6:
	v_mov_b32_e32 v1, 0
	v_or_b32_e32 v6, v4, v3
	v_mov_b32_e32 v2, 0
	s_mov_b32 s11, exec_lo
	s_delay_alu instid0(VALU_DEP_2)
	v_cmpx_gt_u32_e64 s5, v6
	s_cbranch_execz .LBB13_8
; %bb.7:
	s_clause 0x1
	s_load_b128 s[16:19], s[0:1], 0x40
	s_load_b64 s[12:13], s[0:1], 0x50
	s_waitcnt lgkmcnt(0)
	v_mad_u64_u32 v[1:2], null, v6, s18, 0
	s_mul_i32 s13, s15, s13
	s_mul_hi_u32 s14, s15, s12
	s_mul_i32 s12, s15, s12
	s_add_i32 s13, s14, s13
	s_delay_alu instid0(SALU_CYCLE_1) | instskip(NEXT) | instid1(VALU_DEP_1)
	s_lshl_b64 s[12:13], s[12:13], 3
	v_mad_u64_u32 v[7:8], null, v6, s19, v[2:3]
	s_add_u32 s12, s2, s12
	s_addc_u32 s13, s3, s13
	s_lshl_b64 s[2:3], s[16:17], 3
	s_delay_alu instid0(SALU_CYCLE_1) | instskip(SKIP_1) | instid1(VALU_DEP_1)
	s_add_u32 s2, s12, s2
	s_addc_u32 s3, s13, s3
	v_mov_b32_e32 v2, v7
	s_delay_alu instid0(VALU_DEP_1) | instskip(NEXT) | instid1(VALU_DEP_1)
	v_lshlrev_b64 v[1:2], 3, v[1:2]
	v_add_co_u32 v1, vcc_lo, s2, v1
	s_delay_alu instid0(VALU_DEP_2)
	v_add_co_ci_u32_e32 v2, vcc_lo, s3, v2, vcc_lo
	global_load_b64 v[1:2], v[1:2], off
.LBB13_8:
	s_or_b32 exec_lo, exec_lo, s11
	v_or_b32_e32 v6, v5, v3
	s_delay_alu instid0(VALU_DEP_1)
	v_lshlrev_b32_e32 v6, 3, v6
	s_waitcnt vmcnt(0)
	ds_store_b64 v6, v[1:2]
.LBB13_9:
	s_or_b32 exec_lo, exec_lo, s10
	s_waitcnt lgkmcnt(0)
	s_barrier
	buffer_gl0_inv
	s_mov_b32 s2, exec_lo
	v_cmpx_gt_i32_e64 s4, v0
	s_cbranch_execz .LBB13_14
; %bb.10:
	v_lshlrev_b32_e32 v1, 3, v3
	s_clause 0x1
	s_load_b64 s[10:11], s[0:1], 0x70
	s_load_b128 s[0:3], s[0:1], 0x60
	ds_load_b64 v[1:2], v1 offset:512
	s_waitcnt lgkmcnt(0)
	s_mul_i32 s4, s15, s11
	v_mul_f64 v[2:3], v[1:2], s[6:7]
	s_mul_hi_u32 s6, s15, s10
	v_ashrrev_i32_e32 v1, 31, v0
	s_add_i32 s7, s6, s4
	s_mul_i32 s6, s15, s10
	s_delay_alu instid0(SALU_CYCLE_1) | instskip(NEXT) | instid1(VALU_DEP_1)
	s_lshl_b64 s[6:7], s[6:7], 3
	v_lshlrev_b64 v[6:7], 3, v[0:1]
	s_add_u32 s4, s8, s6
	s_addc_u32 s6, s9, s7
	s_lshl_b64 s[0:1], s[0:1], 3
	v_lshlrev_b32_e32 v0, 3, v5
	s_add_u32 s0, s4, s0
	s_addc_u32 s1, s6, s1
	v_add_co_u32 v1, vcc_lo, s0, v6
	v_add_co_ci_u32_e32 v6, vcc_lo, s1, v7, vcc_lo
	s_mov_b32 s0, exec_lo
	v_cmpx_gt_i32_e64 s5, v4
	s_cbranch_execz .LBB13_12
; %bb.11:
	v_ashrrev_i32_e32 v5, 31, v4
	v_mul_lo_u32 v9, v4, s3
	v_mad_u64_u32 v[7:8], null, v4, s2, 0
	ds_load_b64 v[11:12], v0
	v_mul_lo_u32 v5, v5, s2
	s_delay_alu instid0(VALU_DEP_1) | instskip(NEXT) | instid1(VALU_DEP_1)
	v_add3_u32 v8, v8, v9, v5
	v_lshlrev_b64 v[7:8], 3, v[7:8]
	s_delay_alu instid0(VALU_DEP_1) | instskip(NEXT) | instid1(VALU_DEP_2)
	v_add_co_u32 v7, vcc_lo, v1, v7
	v_add_co_ci_u32_e32 v8, vcc_lo, v6, v8, vcc_lo
	global_load_b64 v[9:10], v[7:8], off
	s_waitcnt vmcnt(0) lgkmcnt(0)
	v_fma_f64 v[9:10], v[2:3], v[11:12], v[9:10]
	global_store_b64 v[7:8], v[9:10], off
.LBB13_12:
	s_or_b32 exec_lo, exec_lo, s0
	v_or_b32_e32 v4, 1, v4
	s_delay_alu instid0(VALU_DEP_1)
	v_cmp_gt_i32_e32 vcc_lo, s5, v4
	s_and_b32 exec_lo, exec_lo, vcc_lo
	s_cbranch_execz .LBB13_14
; %bb.13:
	v_ashrrev_i32_e32 v5, 31, v4
	v_mul_lo_u32 v9, v4, s3
	v_mad_u64_u32 v[7:8], null, v4, s2, 0
	s_delay_alu instid0(VALU_DEP_3) | instskip(NEXT) | instid1(VALU_DEP_1)
	v_mul_lo_u32 v4, v5, s2
	v_add3_u32 v8, v8, v9, v4
	s_delay_alu instid0(VALU_DEP_1) | instskip(NEXT) | instid1(VALU_DEP_1)
	v_lshlrev_b64 v[4:5], 3, v[7:8]
	v_add_co_u32 v4, vcc_lo, v1, v4
	s_delay_alu instid0(VALU_DEP_2)
	v_add_co_ci_u32_e32 v5, vcc_lo, v6, v5, vcc_lo
	ds_load_b64 v[0:1], v0 offset:8
	global_load_b64 v[6:7], v[4:5], off
	s_waitcnt vmcnt(0) lgkmcnt(0)
	v_fma_f64 v[0:1], v[2:3], v[0:1], v[6:7]
	global_store_b64 v[4:5], v[0:1], off
.LBB13_14:
	s_nop 0
	s_sendmsg sendmsg(MSG_DEALLOC_VGPRS)
	s_endpgm
	.section	.rodata,"a",@progbits
	.p2align	6, 0x0
	.amdhsa_kernel _ZL18rocblas_ger_kernelILi32ELi32ELi2ELb0EddPKdPdEviiT4_lT5_lllS4_lllT6_lmli
		.amdhsa_group_segment_fixed_size 768
		.amdhsa_private_segment_fixed_size 0
		.amdhsa_kernarg_size 124
		.amdhsa_user_sgpr_count 14
		.amdhsa_user_sgpr_dispatch_ptr 0
		.amdhsa_user_sgpr_queue_ptr 0
		.amdhsa_user_sgpr_kernarg_segment_ptr 1
		.amdhsa_user_sgpr_dispatch_id 0
		.amdhsa_user_sgpr_private_segment_size 0
		.amdhsa_wavefront_size32 1
		.amdhsa_uses_dynamic_stack 0
		.amdhsa_enable_private_segment 0
		.amdhsa_system_sgpr_workgroup_id_x 1
		.amdhsa_system_sgpr_workgroup_id_y 0
		.amdhsa_system_sgpr_workgroup_id_z 1
		.amdhsa_system_sgpr_workgroup_info 0
		.amdhsa_system_vgpr_workitem_id 1
		.amdhsa_next_free_vgpr 13
		.amdhsa_next_free_sgpr 24
		.amdhsa_reserve_vcc 1
		.amdhsa_float_round_mode_32 0
		.amdhsa_float_round_mode_16_64 0
		.amdhsa_float_denorm_mode_32 3
		.amdhsa_float_denorm_mode_16_64 3
		.amdhsa_dx10_clamp 1
		.amdhsa_ieee_mode 1
		.amdhsa_fp16_overflow 0
		.amdhsa_workgroup_processor_mode 1
		.amdhsa_memory_ordered 1
		.amdhsa_forward_progress 0
		.amdhsa_shared_vgpr_count 0
		.amdhsa_exception_fp_ieee_invalid_op 0
		.amdhsa_exception_fp_denorm_src 0
		.amdhsa_exception_fp_ieee_div_zero 0
		.amdhsa_exception_fp_ieee_overflow 0
		.amdhsa_exception_fp_ieee_underflow 0
		.amdhsa_exception_fp_ieee_inexact 0
		.amdhsa_exception_int_div_zero 0
	.end_amdhsa_kernel
	.section	.text._ZL18rocblas_ger_kernelILi32ELi32ELi2ELb0EddPKdPdEviiT4_lT5_lllS4_lllT6_lmli,"axG",@progbits,_ZL18rocblas_ger_kernelILi32ELi32ELi2ELb0EddPKdPdEviiT4_lT5_lllS4_lllT6_lmli,comdat
.Lfunc_end13:
	.size	_ZL18rocblas_ger_kernelILi32ELi32ELi2ELb0EddPKdPdEviiT4_lT5_lllS4_lllT6_lmli, .Lfunc_end13-_ZL18rocblas_ger_kernelILi32ELi32ELi2ELb0EddPKdPdEviiT4_lT5_lllS4_lllT6_lmli
                                        ; -- End function
	.section	.AMDGPU.csdata,"",@progbits
; Kernel info:
; codeLenInByte = 1060
; NumSgprs: 26
; NumVgprs: 13
; ScratchSize: 0
; MemoryBound: 0
; FloatMode: 240
; IeeeMode: 1
; LDSByteSize: 768 bytes/workgroup (compile time only)
; SGPRBlocks: 3
; VGPRBlocks: 1
; NumSGPRsForWavesPerEU: 26
; NumVGPRsForWavesPerEU: 13
; Occupancy: 16
; WaveLimiterHint : 0
; COMPUTE_PGM_RSRC2:SCRATCH_EN: 0
; COMPUTE_PGM_RSRC2:USER_SGPR: 14
; COMPUTE_PGM_RSRC2:TRAP_HANDLER: 0
; COMPUTE_PGM_RSRC2:TGID_X_EN: 1
; COMPUTE_PGM_RSRC2:TGID_Y_EN: 0
; COMPUTE_PGM_RSRC2:TGID_Z_EN: 1
; COMPUTE_PGM_RSRC2:TIDIG_COMP_CNT: 1
	.section	.text._ZL34rocblas_ger_double_buffered_kernelILb0ELi64ELi16ELi2E19rocblas_complex_numIfE24rocblas_internal_val_ptrIS1_EPKS1_PS1_EvbiiT4_lT5_lllS8_lllT6_lmli,"axG",@progbits,_ZL34rocblas_ger_double_buffered_kernelILb0ELi64ELi16ELi2E19rocblas_complex_numIfE24rocblas_internal_val_ptrIS1_EPKS1_PS1_EvbiiT4_lT5_lllS8_lllT6_lmli,comdat
	.globl	_ZL34rocblas_ger_double_buffered_kernelILb0ELi64ELi16ELi2E19rocblas_complex_numIfE24rocblas_internal_val_ptrIS1_EPKS1_PS1_EvbiiT4_lT5_lllS8_lllT6_lmli ; -- Begin function _ZL34rocblas_ger_double_buffered_kernelILb0ELi64ELi16ELi2E19rocblas_complex_numIfE24rocblas_internal_val_ptrIS1_EPKS1_PS1_EvbiiT4_lT5_lllS8_lllT6_lmli
	.p2align	8
	.type	_ZL34rocblas_ger_double_buffered_kernelILb0ELi64ELi16ELi2E19rocblas_complex_numIfE24rocblas_internal_val_ptrIS1_EPKS1_PS1_EvbiiT4_lT5_lllS8_lllT6_lmli,@function
_ZL34rocblas_ger_double_buffered_kernelILb0ELi64ELi16ELi2E19rocblas_complex_numIfE24rocblas_internal_val_ptrIS1_EPKS1_PS1_EvbiiT4_lT5_lllS8_lllT6_lmli: ; @_ZL34rocblas_ger_double_buffered_kernelILb0ELi64ELi16ELi2E19rocblas_complex_numIfE24rocblas_internal_val_ptrIS1_EPKS1_PS1_EvbiiT4_lT5_lllS8_lllT6_lmli
; %bb.0:
	s_clause 0x1
	s_load_b32 s2, s[0:1], 0x0
	s_load_b128 s[4:7], s[0:1], 0x10
	s_mov_b32 s12, 0
	s_waitcnt lgkmcnt(0)
	s_bitcmp0_b32 s2, 0
	s_cbranch_scc0 .LBB14_2
; %bb.1:
	s_mul_i32 s2, s15, s7
	s_mul_hi_u32 s3, s15, s6
	s_delay_alu instid0(SALU_CYCLE_1) | instskip(SKIP_1) | instid1(SALU_CYCLE_1)
	s_add_i32 s3, s3, s2
	s_mul_i32 s2, s15, s6
	s_lshl_b64 s[2:3], s[2:3], 3
	s_delay_alu instid0(SALU_CYCLE_1)
	s_add_u32 s2, s4, s2
	s_addc_u32 s3, s5, s3
	s_load_b64 s[24:25], s[2:3], 0x0
	s_and_not1_b32 vcc_lo, exec_lo, s12
	s_cbranch_vccz .LBB14_3
	s_branch .LBB14_4
.LBB14_2:
	s_mov_b32 s12, -1
                                        ; implicit-def: $sgpr24
.LBB14_3:
	s_mov_b32 s12, 0
	s_waitcnt lgkmcnt(0)
	s_mov_b32 s25, s5
	s_mov_b32 s24, s4
.LBB14_4:
	s_waitcnt lgkmcnt(0)
	v_cmp_neq_f32_e64 s2, s24, 0
	v_cmp_neq_f32_e64 s3, s25, 0
	s_delay_alu instid0(VALU_DEP_1) | instskip(NEXT) | instid1(SALU_CYCLE_1)
	s_or_b32 s2, s2, s3
	s_and_not1_b32 vcc_lo, exec_lo, s2
	s_cbranch_vccnz .LBB14_6
; %bb.5:
	s_clause 0x4
	s_load_b64 s[26:27], s[0:1], 0x78
	s_load_b256 s[4:11], s[0:1], 0x58
	s_load_b256 s[16:23], s[0:1], 0x38
	s_load_b64 s[28:29], s[0:1], 0x20
	s_load_b128 s[0:3], s[0:1], 0x28
	v_and_b32_e32 v1, 0x3ff, v0
	v_bfe_u32 v0, v0, 10, 10
	s_delay_alu instid0(VALU_DEP_2) | instskip(NEXT) | instid1(VALU_DEP_2)
	v_and_b32_e32 v16, 31, v1
	v_lshl_add_u32 v0, v0, 6, v1
	s_delay_alu instid0(VALU_DEP_2) | instskip(NEXT) | instid1(VALU_DEP_2)
	v_or_b32_e32 v10, 32, v16
	v_lshrrev_b32_e32 v9, 4, v0
	s_waitcnt lgkmcnt(0)
	s_mul_i32 s27, s15, s27
	s_mul_hi_u32 s30, s15, s26
	s_mul_i32 s31, s12, s26
	s_add_i32 s27, s30, s27
	s_mul_i32 s26, s15, s26
	s_add_i32 s27, s27, s31
	s_mul_i32 s5, s15, s5
	s_lshl_b64 s[26:27], s[26:27], 3
	s_mul_hi_u32 s30, s15, s4
	s_add_u32 s26, s6, s26
	s_addc_u32 s27, s7, s27
	s_lshl_b64 s[6:7], s[8:9], 3
	s_mul_i32 s8, s12, s4
	s_add_u32 s6, s26, s6
	s_addc_u32 s7, s27, s7
	s_add_i32 s5, s30, s5
	s_mul_i32 s4, s15, s4
	s_add_i32 s5, s5, s8
	v_mad_u64_u32 v[0:1], null, v16, s2, 0
	s_lshl_b64 s[4:5], s[4:5], 3
	v_mad_u64_u32 v[2:3], null, v10, s2, 0
	s_mul_i32 s8, s15, s17
	s_add_u32 s17, s18, s4
	s_addc_u32 s18, s19, s5
	s_lshl_b64 s[4:5], s[20:21], 3
	s_mul_hi_u32 s9, s15, s16
	s_add_u32 s17, s17, s4
	s_mul_i32 s12, s12, s16
	s_addc_u32 s18, s18, s5
	s_add_i32 s5, s9, s8
	s_mul_i32 s4, s15, s16
	s_add_i32 s5, s5, s12
	v_mad_u64_u32 v[4:5], null, v16, s3, v[1:2]
	s_lshl_b64 s[4:5], s[4:5], 3
	v_or_b32_e32 v17, 1, v9
	s_add_u32 s4, s28, s4
	s_addc_u32 s5, s29, s5
	s_lshl_b64 s[0:1], s[0:1], 3
	s_delay_alu instid0(VALU_DEP_2)
	v_mov_b32_e32 v1, v4
	s_add_u32 s8, s4, s0
	s_addc_u32 s9, s5, s1
	s_lshl_b32 s0, s13, 6
	v_mad_u64_u32 v[7:8], null, v10, s3, v[3:4]
	v_mad_u64_u32 v[10:11], null, v17, s22, 0
	v_and_b32_e32 v15, 0x1ffe, v9
	s_ashr_i32 s1, s0, 31
	s_mul_i32 s13, s0, s3
	s_lshl_b64 s[4:5], s[0:1], 3
	s_mul_i32 s1, s1, s2
	v_mad_u64_u32 v[5:6], null, v15, s10, 0
	s_add_u32 s6, s6, s4
	s_addc_u32 s7, s7, s5
	s_lshl_b32 s12, s14, 6
	v_lshlrev_b64 v[0:1], 3, v[0:1]
	s_mul_i32 s4, s12, s11
	s_mul_hi_u32 s5, s12, s10
	s_ashr_i32 s14, s12, 31
	s_add_i32 s5, s5, s4
	s_mul_i32 s15, s14, s10
	s_mul_i32 s4, s12, s10
	s_add_i32 s5, s5, s15
	v_mov_b32_e32 v3, v6
	s_lshl_b64 s[4:5], s[4:5], 3
	s_mul_hi_u32 s15, s0, s2
	s_add_u32 s4, s6, s4
	s_addc_u32 s5, s7, s5
	s_add_i32 s6, s15, s13
	v_mov_b32_e32 v6, v11
	v_mad_u64_u32 v[12:13], null, v15, s11, v[3:4]
	v_mov_b32_e32 v3, v7
	s_mul_i32 s0, s0, s2
	s_add_i32 s1, s6, s1
	v_mad_u64_u32 v[8:9], null, v15, s22, 0
	s_lshl_b64 s[0:1], s[0:1], 3
	v_lshlrev_b64 v[2:3], 3, v[2:3]
	s_add_u32 s0, s8, s0
	s_addc_u32 s6, s9, s1
	v_add_co_u32 v0, vcc_lo, s0, v0
	v_add_co_ci_u32_e32 v1, vcc_lo, s6, v1, vcc_lo
	s_delay_alu instid0(VALU_DEP_3)
	v_add_co_u32 v2, vcc_lo, s0, v2
	v_add_co_ci_u32_e32 v3, vcc_lo, s6, v3, vcc_lo
	s_clause 0x1
	global_load_b64 v[0:1], v[0:1], off
	global_load_b64 v[2:3], v[2:3], off
	v_mov_b32_e32 v4, v9
	s_mul_i32 s2, s12, s23
	s_mul_hi_u32 s1, s12, s22
	s_mul_i32 s14, s14, s22
	s_add_i32 s1, s1, s2
	v_mad_u64_u32 v[13:14], null, v15, s23, v[4:5]
	v_mad_u64_u32 v[14:15], null, v17, s23, v[6:7]
	s_add_i32 s1, s1, s14
	s_mul_i32 s0, s12, s22
	s_lshl_b64 s[2:3], s[10:11], 3
	s_lshl_b64 s[0:1], s[0:1], 3
	v_mov_b32_e32 v6, v12
	s_add_u32 s0, s17, s0
	s_addc_u32 s1, s18, s1
	s_delay_alu instid0(VALU_DEP_1) | instskip(SKIP_2) | instid1(VALU_DEP_1)
	v_lshlrev_b64 v[4:5], 3, v[5:6]
	s_waitcnt vmcnt(1)
	v_dual_mul_f32 v20, s24, v1 :: v_dual_mov_b32 v9, v13
	v_dual_fmac_f32 v20, s25, v0 :: v_dual_mov_b32 v11, v14
	s_delay_alu instid0(VALU_DEP_2) | instskip(NEXT) | instid1(VALU_DEP_2)
	v_lshlrev_b64 v[7:8], 3, v[8:9]
	v_lshlrev_b64 v[9:10], 3, v[10:11]
	s_delay_alu instid0(VALU_DEP_2) | instskip(NEXT) | instid1(VALU_DEP_3)
	v_add_co_u32 v7, vcc_lo, s0, v7
	v_add_co_ci_u32_e32 v8, vcc_lo, s1, v8, vcc_lo
	s_delay_alu instid0(VALU_DEP_3) | instskip(NEXT) | instid1(VALU_DEP_4)
	v_add_co_u32 v9, vcc_lo, s0, v9
	v_add_co_ci_u32_e32 v10, vcc_lo, s1, v10, vcc_lo
	s_clause 0x1
	global_load_b64 v[6:7], v[7:8], off
	global_load_b64 v[8:9], v[9:10], off
	v_lshlrev_b32_e32 v11, 3, v16
	v_add_co_u32 v4, vcc_lo, s4, v4
	v_add_co_ci_u32_e32 v5, vcc_lo, s5, v5, vcc_lo
	s_waitcnt vmcnt(0)
	v_mul_f32_e32 v22, v20, v9
	s_delay_alu instid0(VALU_DEP_3) | instskip(NEXT) | instid1(VALU_DEP_3)
	v_add_co_u32 v4, vcc_lo, v4, v11
	v_add_co_ci_u32_e32 v5, vcc_lo, 0, v5, vcc_lo
	s_delay_alu instid0(VALU_DEP_2) | instskip(NEXT) | instid1(VALU_DEP_2)
	v_add_co_u32 v10, vcc_lo, v4, s2
	v_add_co_ci_u32_e32 v11, vcc_lo, s3, v5, vcc_lo
	global_load_b64 v[12:13], v[4:5], off
	s_clause 0x1
	global_load_b64 v[14:15], v[10:11], off
	global_load_b64 v[16:17], v[10:11], off offset:256
	global_load_b64 v[18:19], v[4:5], off offset:256
	v_mul_f32_e32 v21, s25, v3
	v_mul_f32_e32 v3, s24, v3
	s_delay_alu instid0(VALU_DEP_1) | instskip(NEXT) | instid1(VALU_DEP_1)
	v_fmac_f32_e32 v3, s25, v2
	v_dual_mul_f32 v1, s25, v1 :: v_dual_mul_f32 v24, v3, v7
	s_delay_alu instid0(VALU_DEP_1) | instskip(SKIP_2) | instid1(VALU_DEP_3)
	v_fma_f32 v0, s24, v0, -v1
	v_fma_f32 v1, s24, v2, -v21
	v_mul_f32_e32 v2, v20, v7
	v_mul_f32_e32 v21, v0, v7
	;; [unrolled: 1-line block ×3, first 2 shown]
	s_delay_alu instid0(VALU_DEP_4) | instskip(NEXT) | instid1(VALU_DEP_4)
	v_mul_f32_e32 v7, v1, v7
	v_fma_f32 v2, v0, v6, -v2
	v_fma_f32 v22, v0, v8, -v22
	v_fmac_f32_e32 v21, v20, v6
	v_fmac_f32_e32 v23, v20, v8
	v_fma_f32 v20, v1, v6, -v24
	v_fmac_f32_e32 v7, v3, v6
	s_waitcnt vmcnt(3)
	v_add_f32_e32 v0, v12, v2
	s_waitcnt vmcnt(2)
	v_add_f32_e32 v2, v14, v22
	s_waitcnt vmcnt(0)
	v_dual_add_f32 v6, v18, v20 :: v_dual_mul_f32 v25, v3, v9
	v_mul_f32_e32 v9, v1, v9
	v_add_f32_e32 v7, v19, v7
	s_delay_alu instid0(VALU_DEP_3) | instskip(NEXT) | instid1(VALU_DEP_3)
	v_fma_f32 v24, v1, v8, -v25
	v_fmac_f32_e32 v9, v3, v8
	v_add_f32_e32 v1, v13, v21
	s_delay_alu instid0(VALU_DEP_3) | instskip(NEXT) | instid1(VALU_DEP_3)
	v_dual_add_f32 v3, v15, v23 :: v_dual_add_f32 v8, v16, v24
	v_add_f32_e32 v9, v17, v9
	global_store_b64 v[4:5], v[0:1], off
	s_clause 0x1
	global_store_b64 v[10:11], v[2:3], off
	global_store_b64 v[4:5], v[6:7], off offset:256
	global_store_b64 v[10:11], v[8:9], off offset:256
.LBB14_6:
	s_nop 0
	s_sendmsg sendmsg(MSG_DEALLOC_VGPRS)
	s_endpgm
	.section	.rodata,"a",@progbits
	.p2align	6, 0x0
	.amdhsa_kernel _ZL34rocblas_ger_double_buffered_kernelILb0ELi64ELi16ELi2E19rocblas_complex_numIfE24rocblas_internal_val_ptrIS1_EPKS1_PS1_EvbiiT4_lT5_lllS8_lllT6_lmli
		.amdhsa_group_segment_fixed_size 0
		.amdhsa_private_segment_fixed_size 0
		.amdhsa_kernarg_size 132
		.amdhsa_user_sgpr_count 13
		.amdhsa_user_sgpr_dispatch_ptr 0
		.amdhsa_user_sgpr_queue_ptr 0
		.amdhsa_user_sgpr_kernarg_segment_ptr 1
		.amdhsa_user_sgpr_dispatch_id 0
		.amdhsa_user_sgpr_private_segment_size 0
		.amdhsa_wavefront_size32 1
		.amdhsa_uses_dynamic_stack 0
		.amdhsa_enable_private_segment 0
		.amdhsa_system_sgpr_workgroup_id_x 1
		.amdhsa_system_sgpr_workgroup_id_y 1
		.amdhsa_system_sgpr_workgroup_id_z 1
		.amdhsa_system_sgpr_workgroup_info 0
		.amdhsa_system_vgpr_workitem_id 1
		.amdhsa_next_free_vgpr 26
		.amdhsa_next_free_sgpr 32
		.amdhsa_reserve_vcc 1
		.amdhsa_float_round_mode_32 0
		.amdhsa_float_round_mode_16_64 0
		.amdhsa_float_denorm_mode_32 3
		.amdhsa_float_denorm_mode_16_64 3
		.amdhsa_dx10_clamp 1
		.amdhsa_ieee_mode 1
		.amdhsa_fp16_overflow 0
		.amdhsa_workgroup_processor_mode 1
		.amdhsa_memory_ordered 1
		.amdhsa_forward_progress 0
		.amdhsa_shared_vgpr_count 0
		.amdhsa_exception_fp_ieee_invalid_op 0
		.amdhsa_exception_fp_denorm_src 0
		.amdhsa_exception_fp_ieee_div_zero 0
		.amdhsa_exception_fp_ieee_overflow 0
		.amdhsa_exception_fp_ieee_underflow 0
		.amdhsa_exception_fp_ieee_inexact 0
		.amdhsa_exception_int_div_zero 0
	.end_amdhsa_kernel
	.section	.text._ZL34rocblas_ger_double_buffered_kernelILb0ELi64ELi16ELi2E19rocblas_complex_numIfE24rocblas_internal_val_ptrIS1_EPKS1_PS1_EvbiiT4_lT5_lllS8_lllT6_lmli,"axG",@progbits,_ZL34rocblas_ger_double_buffered_kernelILb0ELi64ELi16ELi2E19rocblas_complex_numIfE24rocblas_internal_val_ptrIS1_EPKS1_PS1_EvbiiT4_lT5_lllS8_lllT6_lmli,comdat
.Lfunc_end14:
	.size	_ZL34rocblas_ger_double_buffered_kernelILb0ELi64ELi16ELi2E19rocblas_complex_numIfE24rocblas_internal_val_ptrIS1_EPKS1_PS1_EvbiiT4_lT5_lllS8_lllT6_lmli, .Lfunc_end14-_ZL34rocblas_ger_double_buffered_kernelILb0ELi64ELi16ELi2E19rocblas_complex_numIfE24rocblas_internal_val_ptrIS1_EPKS1_PS1_EvbiiT4_lT5_lllS8_lllT6_lmli
                                        ; -- End function
	.section	.AMDGPU.csdata,"",@progbits
; Kernel info:
; codeLenInByte = 1124
; NumSgprs: 34
; NumVgprs: 26
; ScratchSize: 0
; MemoryBound: 0
; FloatMode: 240
; IeeeMode: 1
; LDSByteSize: 0 bytes/workgroup (compile time only)
; SGPRBlocks: 4
; VGPRBlocks: 3
; NumSGPRsForWavesPerEU: 34
; NumVGPRsForWavesPerEU: 26
; Occupancy: 16
; WaveLimiterHint : 0
; COMPUTE_PGM_RSRC2:SCRATCH_EN: 0
; COMPUTE_PGM_RSRC2:USER_SGPR: 13
; COMPUTE_PGM_RSRC2:TRAP_HANDLER: 0
; COMPUTE_PGM_RSRC2:TGID_X_EN: 1
; COMPUTE_PGM_RSRC2:TGID_Y_EN: 1
; COMPUTE_PGM_RSRC2:TGID_Z_EN: 1
; COMPUTE_PGM_RSRC2:TIDIG_COMP_CNT: 1
	.section	.text._ZL26rocblas_sger_gfx942_kernelILi256E19rocblas_complex_numIfEPKS1_S3_PS1_EviiT1_lT2_lllS6_lllT3_lll,"axG",@progbits,_ZL26rocblas_sger_gfx942_kernelILi256E19rocblas_complex_numIfEPKS1_S3_PS1_EviiT1_lT2_lllS6_lllT3_lll,comdat
	.globl	_ZL26rocblas_sger_gfx942_kernelILi256E19rocblas_complex_numIfEPKS1_S3_PS1_EviiT1_lT2_lllS6_lllT3_lll ; -- Begin function _ZL26rocblas_sger_gfx942_kernelILi256E19rocblas_complex_numIfEPKS1_S3_PS1_EviiT1_lT2_lllS6_lllT3_lll
	.p2align	8
	.type	_ZL26rocblas_sger_gfx942_kernelILi256E19rocblas_complex_numIfEPKS1_S3_PS1_EviiT1_lT2_lllS6_lllT3_lll,@function
_ZL26rocblas_sger_gfx942_kernelILi256E19rocblas_complex_numIfEPKS1_S3_PS1_EviiT1_lT2_lllS6_lllT3_lll: ; @_ZL26rocblas_sger_gfx942_kernelILi256E19rocblas_complex_numIfEPKS1_S3_PS1_EviiT1_lT2_lllS6_lllT3_lll
; %bb.0:
	s_endpgm
	.section	.rodata,"a",@progbits
	.p2align	6, 0x0
	.amdhsa_kernel _ZL26rocblas_sger_gfx942_kernelILi256E19rocblas_complex_numIfEPKS1_S3_PS1_EviiT1_lT2_lllS6_lllT3_lll
		.amdhsa_group_segment_fixed_size 0
		.amdhsa_private_segment_fixed_size 0
		.amdhsa_kernarg_size 120
		.amdhsa_user_sgpr_count 15
		.amdhsa_user_sgpr_dispatch_ptr 0
		.amdhsa_user_sgpr_queue_ptr 0
		.amdhsa_user_sgpr_kernarg_segment_ptr 1
		.amdhsa_user_sgpr_dispatch_id 0
		.amdhsa_user_sgpr_private_segment_size 0
		.amdhsa_wavefront_size32 1
		.amdhsa_uses_dynamic_stack 0
		.amdhsa_enable_private_segment 0
		.amdhsa_system_sgpr_workgroup_id_x 1
		.amdhsa_system_sgpr_workgroup_id_y 0
		.amdhsa_system_sgpr_workgroup_id_z 0
		.amdhsa_system_sgpr_workgroup_info 0
		.amdhsa_system_vgpr_workitem_id 0
		.amdhsa_next_free_vgpr 1
		.amdhsa_next_free_sgpr 1
		.amdhsa_reserve_vcc 0
		.amdhsa_float_round_mode_32 0
		.amdhsa_float_round_mode_16_64 0
		.amdhsa_float_denorm_mode_32 3
		.amdhsa_float_denorm_mode_16_64 3
		.amdhsa_dx10_clamp 1
		.amdhsa_ieee_mode 1
		.amdhsa_fp16_overflow 0
		.amdhsa_workgroup_processor_mode 1
		.amdhsa_memory_ordered 1
		.amdhsa_forward_progress 0
		.amdhsa_shared_vgpr_count 0
		.amdhsa_exception_fp_ieee_invalid_op 0
		.amdhsa_exception_fp_denorm_src 0
		.amdhsa_exception_fp_ieee_div_zero 0
		.amdhsa_exception_fp_ieee_overflow 0
		.amdhsa_exception_fp_ieee_underflow 0
		.amdhsa_exception_fp_ieee_inexact 0
		.amdhsa_exception_int_div_zero 0
	.end_amdhsa_kernel
	.section	.text._ZL26rocblas_sger_gfx942_kernelILi256E19rocblas_complex_numIfEPKS1_S3_PS1_EviiT1_lT2_lllS6_lllT3_lll,"axG",@progbits,_ZL26rocblas_sger_gfx942_kernelILi256E19rocblas_complex_numIfEPKS1_S3_PS1_EviiT1_lT2_lllS6_lllT3_lll,comdat
.Lfunc_end15:
	.size	_ZL26rocblas_sger_gfx942_kernelILi256E19rocblas_complex_numIfEPKS1_S3_PS1_EviiT1_lT2_lllS6_lllT3_lll, .Lfunc_end15-_ZL26rocblas_sger_gfx942_kernelILi256E19rocblas_complex_numIfEPKS1_S3_PS1_EviiT1_lT2_lllS6_lllT3_lll
                                        ; -- End function
	.section	.AMDGPU.csdata,"",@progbits
; Kernel info:
; codeLenInByte = 4
; NumSgprs: 0
; NumVgprs: 0
; ScratchSize: 0
; MemoryBound: 0
; FloatMode: 240
; IeeeMode: 1
; LDSByteSize: 0 bytes/workgroup (compile time only)
; SGPRBlocks: 0
; VGPRBlocks: 0
; NumSGPRsForWavesPerEU: 1
; NumVGPRsForWavesPerEU: 1
; Occupancy: 16
; WaveLimiterHint : 0
; COMPUTE_PGM_RSRC2:SCRATCH_EN: 0
; COMPUTE_PGM_RSRC2:USER_SGPR: 15
; COMPUTE_PGM_RSRC2:TRAP_HANDLER: 0
; COMPUTE_PGM_RSRC2:TGID_X_EN: 1
; COMPUTE_PGM_RSRC2:TGID_Y_EN: 0
; COMPUTE_PGM_RSRC2:TGID_Z_EN: 0
; COMPUTE_PGM_RSRC2:TIDIG_COMP_CNT: 0
	.section	.text._ZL26rocblas_sger_gfx942_kernelILi256E19rocblas_complex_numIfES1_PKS1_PS1_EviiT1_lT2_lllS6_lllT3_lll,"axG",@progbits,_ZL26rocblas_sger_gfx942_kernelILi256E19rocblas_complex_numIfES1_PKS1_PS1_EviiT1_lT2_lllS6_lllT3_lll,comdat
	.globl	_ZL26rocblas_sger_gfx942_kernelILi256E19rocblas_complex_numIfES1_PKS1_PS1_EviiT1_lT2_lllS6_lllT3_lll ; -- Begin function _ZL26rocblas_sger_gfx942_kernelILi256E19rocblas_complex_numIfES1_PKS1_PS1_EviiT1_lT2_lllS6_lllT3_lll
	.p2align	8
	.type	_ZL26rocblas_sger_gfx942_kernelILi256E19rocblas_complex_numIfES1_PKS1_PS1_EviiT1_lT2_lllS6_lllT3_lll,@function
_ZL26rocblas_sger_gfx942_kernelILi256E19rocblas_complex_numIfES1_PKS1_PS1_EviiT1_lT2_lllS6_lllT3_lll: ; @_ZL26rocblas_sger_gfx942_kernelILi256E19rocblas_complex_numIfES1_PKS1_PS1_EviiT1_lT2_lllS6_lllT3_lll
; %bb.0:
	s_endpgm
	.section	.rodata,"a",@progbits
	.p2align	6, 0x0
	.amdhsa_kernel _ZL26rocblas_sger_gfx942_kernelILi256E19rocblas_complex_numIfES1_PKS1_PS1_EviiT1_lT2_lllS6_lllT3_lll
		.amdhsa_group_segment_fixed_size 0
		.amdhsa_private_segment_fixed_size 0
		.amdhsa_kernarg_size 120
		.amdhsa_user_sgpr_count 15
		.amdhsa_user_sgpr_dispatch_ptr 0
		.amdhsa_user_sgpr_queue_ptr 0
		.amdhsa_user_sgpr_kernarg_segment_ptr 1
		.amdhsa_user_sgpr_dispatch_id 0
		.amdhsa_user_sgpr_private_segment_size 0
		.amdhsa_wavefront_size32 1
		.amdhsa_uses_dynamic_stack 0
		.amdhsa_enable_private_segment 0
		.amdhsa_system_sgpr_workgroup_id_x 1
		.amdhsa_system_sgpr_workgroup_id_y 0
		.amdhsa_system_sgpr_workgroup_id_z 0
		.amdhsa_system_sgpr_workgroup_info 0
		.amdhsa_system_vgpr_workitem_id 0
		.amdhsa_next_free_vgpr 1
		.amdhsa_next_free_sgpr 1
		.amdhsa_reserve_vcc 0
		.amdhsa_float_round_mode_32 0
		.amdhsa_float_round_mode_16_64 0
		.amdhsa_float_denorm_mode_32 3
		.amdhsa_float_denorm_mode_16_64 3
		.amdhsa_dx10_clamp 1
		.amdhsa_ieee_mode 1
		.amdhsa_fp16_overflow 0
		.amdhsa_workgroup_processor_mode 1
		.amdhsa_memory_ordered 1
		.amdhsa_forward_progress 0
		.amdhsa_shared_vgpr_count 0
		.amdhsa_exception_fp_ieee_invalid_op 0
		.amdhsa_exception_fp_denorm_src 0
		.amdhsa_exception_fp_ieee_div_zero 0
		.amdhsa_exception_fp_ieee_overflow 0
		.amdhsa_exception_fp_ieee_underflow 0
		.amdhsa_exception_fp_ieee_inexact 0
		.amdhsa_exception_int_div_zero 0
	.end_amdhsa_kernel
	.section	.text._ZL26rocblas_sger_gfx942_kernelILi256E19rocblas_complex_numIfES1_PKS1_PS1_EviiT1_lT2_lllS6_lllT3_lll,"axG",@progbits,_ZL26rocblas_sger_gfx942_kernelILi256E19rocblas_complex_numIfES1_PKS1_PS1_EviiT1_lT2_lllS6_lllT3_lll,comdat
.Lfunc_end16:
	.size	_ZL26rocblas_sger_gfx942_kernelILi256E19rocblas_complex_numIfES1_PKS1_PS1_EviiT1_lT2_lllS6_lllT3_lll, .Lfunc_end16-_ZL26rocblas_sger_gfx942_kernelILi256E19rocblas_complex_numIfES1_PKS1_PS1_EviiT1_lT2_lllS6_lllT3_lll
                                        ; -- End function
	.section	.AMDGPU.csdata,"",@progbits
; Kernel info:
; codeLenInByte = 4
; NumSgprs: 0
; NumVgprs: 0
; ScratchSize: 0
; MemoryBound: 0
; FloatMode: 240
; IeeeMode: 1
; LDSByteSize: 0 bytes/workgroup (compile time only)
; SGPRBlocks: 0
; VGPRBlocks: 0
; NumSGPRsForWavesPerEU: 1
; NumVGPRsForWavesPerEU: 1
; Occupancy: 16
; WaveLimiterHint : 0
; COMPUTE_PGM_RSRC2:SCRATCH_EN: 0
; COMPUTE_PGM_RSRC2:USER_SGPR: 15
; COMPUTE_PGM_RSRC2:TRAP_HANDLER: 0
; COMPUTE_PGM_RSRC2:TGID_X_EN: 1
; COMPUTE_PGM_RSRC2:TGID_Y_EN: 0
; COMPUTE_PGM_RSRC2:TGID_Z_EN: 0
; COMPUTE_PGM_RSRC2:TIDIG_COMP_CNT: 0
	.section	.text._ZL19rocblas_sger_kernelILi1024E19rocblas_complex_numIfEPKS1_S3_PS1_EviiT1_lT2_lllS6_lllT3_lmli,"axG",@progbits,_ZL19rocblas_sger_kernelILi1024E19rocblas_complex_numIfEPKS1_S3_PS1_EviiT1_lT2_lllS6_lllT3_lmli,comdat
	.globl	_ZL19rocblas_sger_kernelILi1024E19rocblas_complex_numIfEPKS1_S3_PS1_EviiT1_lT2_lllS6_lllT3_lmli ; -- Begin function _ZL19rocblas_sger_kernelILi1024E19rocblas_complex_numIfEPKS1_S3_PS1_EviiT1_lT2_lllS6_lllT3_lmli
	.p2align	8
	.type	_ZL19rocblas_sger_kernelILi1024E19rocblas_complex_numIfEPKS1_S3_PS1_EviiT1_lT2_lllS6_lllT3_lmli,@function
_ZL19rocblas_sger_kernelILi1024E19rocblas_complex_numIfEPKS1_S3_PS1_EviiT1_lT2_lllS6_lllT3_lmli: ; @_ZL19rocblas_sger_kernelILi1024E19rocblas_complex_numIfEPKS1_S3_PS1_EviiT1_lT2_lllS6_lllT3_lmli
; %bb.0:
	s_load_b128 s[4:7], s[0:1], 0x8
	s_waitcnt lgkmcnt(0)
	s_mul_i32 s3, s15, s7
	s_mul_hi_u32 s7, s15, s6
	s_mul_i32 s2, s15, s6
	s_add_i32 s3, s7, s3
	s_delay_alu instid0(SALU_CYCLE_1) | instskip(NEXT) | instid1(SALU_CYCLE_1)
	s_lshl_b64 s[2:3], s[2:3], 3
	s_add_u32 s2, s4, s2
	s_addc_u32 s3, s5, s3
	s_load_b64 s[2:3], s[2:3], 0x0
	s_waitcnt lgkmcnt(0)
	v_cmp_neq_f32_e64 s4, s2, 0
	v_cmp_neq_f32_e64 s5, s3, 0
	s_delay_alu instid0(VALU_DEP_1) | instskip(NEXT) | instid1(SALU_CYCLE_1)
	s_or_b32 s4, s4, s5
	s_and_not1_b32 vcc_lo, exec_lo, s4
	s_cbranch_vccnz .LBB17_4
; %bb.1:
	s_load_b32 s12, s[0:1], 0x0
	s_waitcnt lgkmcnt(0)
	v_cmp_gt_i32_e32 vcc_lo, s12, v0
	s_and_saveexec_b32 s4, vcc_lo
	s_cbranch_execz .LBB17_4
; %bb.2:
	s_clause 0x4
	s_load_b256 s[4:11], s[0:1], 0x50
	s_load_b256 s[16:23], s[0:1], 0x30
	s_load_b64 s[28:29], s[0:1], 0x70
	s_load_b128 s[24:27], s[0:1], 0x20
	s_load_b64 s[0:1], s[0:1], 0x18
	v_cndmask_b32_e32 v1, 0, v0, vcc_lo
	s_delay_alu instid0(VALU_DEP_1)
	v_lshlrev_b32_e32 v6, 3, v1
	s_waitcnt lgkmcnt(0)
	s_mul_i32 s5, s15, s5
	s_mul_hi_u32 s13, s15, s4
	s_mul_i32 s4, s15, s4
	s_add_i32 s5, s13, s5
	s_mul_i32 s23, s14, s23
	s_lshl_b64 s[4:5], s[4:5], 3
	s_mul_hi_u32 s31, s14, s22
	s_add_u32 s18, s18, s4
	s_addc_u32 s19, s19, s5
	s_lshl_b64 s[4:5], s[20:21], 3
	s_mul_i32 s30, s14, s22
	s_add_u32 s20, s18, s4
	s_mul_hi_u32 s33, s10, s14
	s_mul_i32 s11, s11, s14
	s_mul_i32 s34, s10, s14
	s_addc_u32 s5, s19, s5
	s_ashr_i32 s14, s14, 31
	s_add_i32 s18, s31, s23
	s_mul_i32 s19, s14, s22
	v_mad_u64_u32 v[1:2], null, s26, v0, 0
	s_add_i32 s31, s18, s19
	s_mul_i32 s13, s29, s15
	s_lshl_b64 s[18:19], s[30:31], 3
	s_mul_hi_u32 s29, s28, s15
	s_add_u32 s18, s20, s18
	s_addc_u32 s19, s5, s19
	s_mul_i32 s5, s10, s14
	s_load_b64 s[18:19], s[18:19], 0x0
	s_add_i32 s10, s33, s5
	v_mad_u64_u32 v[3:4], null, s27, v0, v[2:3]
	s_mul_i32 s4, s28, s15
	s_add_i32 s5, s29, s13
	s_add_i32 s35, s10, s11
	s_lshl_b64 s[4:5], s[4:5], 3
	s_lshl_b64 s[10:11], s[34:35], 3
	s_mul_i32 s17, s17, s15
	s_delay_alu instid0(VALU_DEP_1)
	v_mov_b32_e32 v2, v3
	s_add_u32 s10, s10, s4
	s_addc_u32 s11, s11, s5
	s_lshl_b64 s[4:5], s[8:9], 3
	s_mul_hi_u32 s20, s16, s15
	s_add_u32 s4, s10, s4
	s_addc_u32 s5, s11, s5
	s_add_u32 s6, s6, s4
	s_mul_i32 s14, s16, s15
	s_addc_u32 s7, s7, s5
	s_add_i32 s15, s20, s17
	v_add_co_u32 v4, s6, s6, v6
	s_lshl_b64 s[4:5], s[24:25], 3
	v_lshlrev_b64 v[1:2], 3, v[1:2]
	s_waitcnt lgkmcnt(0)
	v_mul_f32_e64 v3, s3, s19
	v_add_co_ci_u32_e64 v7, null, s7, 0, s6
	s_lshl_b64 s[6:7], s[14:15], 3
	s_add_u32 s0, s0, s4
	s_addc_u32 s1, s1, s5
	s_add_u32 s0, s0, s6
	v_fma_f32 v6, s2, s18, -v3
	s_addc_u32 s1, s1, s7
	v_add_co_u32 v3, vcc_lo, s0, v1
	v_add_co_ci_u32_e32 v8, vcc_lo, s1, v2, vcc_lo
	v_mul_f32_e64 v5, s2, s19
	v_add_co_u32 v1, vcc_lo, v4, 4
	v_add_co_ci_u32_e32 v2, vcc_lo, 0, v7, vcc_lo
	v_add_co_u32 v3, vcc_lo, v3, 4
	s_delay_alu instid0(VALU_DEP_4)
	v_fmac_f32_e64 v5, s3, s18
	v_add_co_ci_u32_e32 v4, vcc_lo, 0, v8, vcc_lo
	s_mov_b32 s1, 0
	s_lshl_b64 s[2:3], s[26:27], 13
	.p2align	6
.LBB17_3:                               ; =>This Inner Loop Header: Depth=1
	global_load_b64 v[7:8], v[3:4], off offset:-4
	global_load_b64 v[9:10], v[1:2], off offset:-4
	v_add_co_u32 v3, vcc_lo, v3, s2
	v_add_co_ci_u32_e32 v4, vcc_lo, s3, v4, vcc_lo
	s_waitcnt vmcnt(1)
	v_mul_f32_e32 v11, v5, v8
	v_mul_f32_e32 v8, v6, v8
	s_delay_alu instid0(VALU_DEP_2) | instskip(NEXT) | instid1(VALU_DEP_2)
	v_fma_f32 v11, v6, v7, -v11
	v_fmac_f32_e32 v8, v5, v7
	s_waitcnt vmcnt(0)
	s_delay_alu instid0(VALU_DEP_2) | instskip(NEXT) | instid1(VALU_DEP_2)
	v_dual_add_f32 v7, v9, v11 :: v_dual_add_nc_u32 v0, 0x400, v0
	v_add_f32_e32 v8, v10, v8
	s_delay_alu instid0(VALU_DEP_2) | instskip(SKIP_2) | instid1(VALU_DEP_1)
	v_cmp_le_i32_e32 vcc_lo, s12, v0
	global_store_b64 v[1:2], v[7:8], off offset:-4
	v_add_co_u32 v1, s0, 0x2000, v1
	v_add_co_ci_u32_e64 v2, s0, 0, v2, s0
	s_or_b32 s1, vcc_lo, s1
	s_delay_alu instid0(SALU_CYCLE_1)
	s_and_not1_b32 exec_lo, exec_lo, s1
	s_cbranch_execnz .LBB17_3
.LBB17_4:
	s_nop 0
	s_sendmsg sendmsg(MSG_DEALLOC_VGPRS)
	s_endpgm
	.section	.rodata,"a",@progbits
	.p2align	6, 0x0
	.amdhsa_kernel _ZL19rocblas_sger_kernelILi1024E19rocblas_complex_numIfEPKS1_S3_PS1_EviiT1_lT2_lllS6_lllT3_lmli
		.amdhsa_group_segment_fixed_size 0
		.amdhsa_private_segment_fixed_size 0
		.amdhsa_kernarg_size 124
		.amdhsa_user_sgpr_count 14
		.amdhsa_user_sgpr_dispatch_ptr 0
		.amdhsa_user_sgpr_queue_ptr 0
		.amdhsa_user_sgpr_kernarg_segment_ptr 1
		.amdhsa_user_sgpr_dispatch_id 0
		.amdhsa_user_sgpr_private_segment_size 0
		.amdhsa_wavefront_size32 1
		.amdhsa_uses_dynamic_stack 0
		.amdhsa_enable_private_segment 0
		.amdhsa_system_sgpr_workgroup_id_x 1
		.amdhsa_system_sgpr_workgroup_id_y 0
		.amdhsa_system_sgpr_workgroup_id_z 1
		.amdhsa_system_sgpr_workgroup_info 0
		.amdhsa_system_vgpr_workitem_id 0
		.amdhsa_next_free_vgpr 12
		.amdhsa_next_free_sgpr 36
		.amdhsa_reserve_vcc 1
		.amdhsa_float_round_mode_32 0
		.amdhsa_float_round_mode_16_64 0
		.amdhsa_float_denorm_mode_32 3
		.amdhsa_float_denorm_mode_16_64 3
		.amdhsa_dx10_clamp 1
		.amdhsa_ieee_mode 1
		.amdhsa_fp16_overflow 0
		.amdhsa_workgroup_processor_mode 1
		.amdhsa_memory_ordered 1
		.amdhsa_forward_progress 0
		.amdhsa_shared_vgpr_count 0
		.amdhsa_exception_fp_ieee_invalid_op 0
		.amdhsa_exception_fp_denorm_src 0
		.amdhsa_exception_fp_ieee_div_zero 0
		.amdhsa_exception_fp_ieee_overflow 0
		.amdhsa_exception_fp_ieee_underflow 0
		.amdhsa_exception_fp_ieee_inexact 0
		.amdhsa_exception_int_div_zero 0
	.end_amdhsa_kernel
	.section	.text._ZL19rocblas_sger_kernelILi1024E19rocblas_complex_numIfEPKS1_S3_PS1_EviiT1_lT2_lllS6_lllT3_lmli,"axG",@progbits,_ZL19rocblas_sger_kernelILi1024E19rocblas_complex_numIfEPKS1_S3_PS1_EviiT1_lT2_lllS6_lllT3_lmli,comdat
.Lfunc_end17:
	.size	_ZL19rocblas_sger_kernelILi1024E19rocblas_complex_numIfEPKS1_S3_PS1_EviiT1_lT2_lllS6_lllT3_lmli, .Lfunc_end17-_ZL19rocblas_sger_kernelILi1024E19rocblas_complex_numIfEPKS1_S3_PS1_EviiT1_lT2_lllS6_lllT3_lmli
                                        ; -- End function
	.section	.AMDGPU.csdata,"",@progbits
; Kernel info:
; codeLenInByte = 652
; NumSgprs: 38
; NumVgprs: 12
; ScratchSize: 0
; MemoryBound: 0
; FloatMode: 240
; IeeeMode: 1
; LDSByteSize: 0 bytes/workgroup (compile time only)
; SGPRBlocks: 4
; VGPRBlocks: 1
; NumSGPRsForWavesPerEU: 38
; NumVGPRsForWavesPerEU: 12
; Occupancy: 16
; WaveLimiterHint : 0
; COMPUTE_PGM_RSRC2:SCRATCH_EN: 0
; COMPUTE_PGM_RSRC2:USER_SGPR: 14
; COMPUTE_PGM_RSRC2:TRAP_HANDLER: 0
; COMPUTE_PGM_RSRC2:TGID_X_EN: 1
; COMPUTE_PGM_RSRC2:TGID_Y_EN: 0
; COMPUTE_PGM_RSRC2:TGID_Z_EN: 1
; COMPUTE_PGM_RSRC2:TIDIG_COMP_CNT: 0
	.section	.text._ZL19rocblas_sger_kernelILi1024E19rocblas_complex_numIfES1_PKS1_PS1_EviiT1_lT2_lllS6_lllT3_lmli,"axG",@progbits,_ZL19rocblas_sger_kernelILi1024E19rocblas_complex_numIfES1_PKS1_PS1_EviiT1_lT2_lllS6_lllT3_lmli,comdat
	.globl	_ZL19rocblas_sger_kernelILi1024E19rocblas_complex_numIfES1_PKS1_PS1_EviiT1_lT2_lllS6_lllT3_lmli ; -- Begin function _ZL19rocblas_sger_kernelILi1024E19rocblas_complex_numIfES1_PKS1_PS1_EviiT1_lT2_lllS6_lllT3_lmli
	.p2align	8
	.type	_ZL19rocblas_sger_kernelILi1024E19rocblas_complex_numIfES1_PKS1_PS1_EviiT1_lT2_lllS6_lllT3_lmli,@function
_ZL19rocblas_sger_kernelILi1024E19rocblas_complex_numIfES1_PKS1_PS1_EviiT1_lT2_lllS6_lllT3_lmli: ; @_ZL19rocblas_sger_kernelILi1024E19rocblas_complex_numIfES1_PKS1_PS1_EviiT1_lT2_lllS6_lllT3_lmli
; %bb.0:
	s_load_b64 s[2:3], s[0:1], 0x8
	s_waitcnt lgkmcnt(0)
	v_cmp_neq_f32_e64 s4, s2, 0
	v_cmp_neq_f32_e64 s5, s3, 0
	s_delay_alu instid0(VALU_DEP_1) | instskip(NEXT) | instid1(SALU_CYCLE_1)
	s_or_b32 s4, s4, s5
	s_and_not1_b32 vcc_lo, exec_lo, s4
	s_cbranch_vccnz .LBB18_4
; %bb.1:
	s_load_b32 s12, s[0:1], 0x0
	s_waitcnt lgkmcnt(0)
	v_cmp_gt_i32_e32 vcc_lo, s12, v0
	s_and_saveexec_b32 s4, vcc_lo
	s_cbranch_execz .LBB18_4
; %bb.2:
	s_clause 0x4
	s_load_b256 s[4:11], s[0:1], 0x50
	s_load_b256 s[16:23], s[0:1], 0x30
	s_load_b64 s[28:29], s[0:1], 0x70
	s_load_b128 s[24:27], s[0:1], 0x20
	s_load_b64 s[0:1], s[0:1], 0x18
	v_cndmask_b32_e32 v1, 0, v0, vcc_lo
	s_delay_alu instid0(VALU_DEP_1)
	v_lshlrev_b32_e32 v6, 3, v1
	s_waitcnt lgkmcnt(0)
	s_mul_i32 s5, s15, s5
	s_mul_hi_u32 s13, s15, s4
	s_mul_i32 s4, s15, s4
	s_add_i32 s5, s13, s5
	s_mul_i32 s23, s14, s23
	s_lshl_b64 s[4:5], s[4:5], 3
	s_mul_hi_u32 s31, s14, s22
	s_add_u32 s18, s18, s4
	s_addc_u32 s19, s19, s5
	s_lshl_b64 s[4:5], s[20:21], 3
	s_mul_i32 s30, s14, s22
	s_add_u32 s20, s18, s4
	s_mul_hi_u32 s33, s10, s14
	s_mul_i32 s11, s11, s14
	s_mul_i32 s34, s10, s14
	s_addc_u32 s5, s19, s5
	s_ashr_i32 s14, s14, 31
	s_add_i32 s18, s31, s23
	s_mul_i32 s19, s14, s22
	v_mad_u64_u32 v[1:2], null, s26, v0, 0
	s_add_i32 s31, s18, s19
	s_mul_i32 s13, s29, s15
	s_lshl_b64 s[18:19], s[30:31], 3
	s_mul_hi_u32 s29, s28, s15
	s_add_u32 s18, s20, s18
	s_addc_u32 s19, s5, s19
	s_mul_i32 s5, s10, s14
	s_load_b64 s[18:19], s[18:19], 0x0
	s_add_i32 s10, s33, s5
	v_mad_u64_u32 v[3:4], null, s27, v0, v[2:3]
	s_mul_i32 s4, s28, s15
	s_add_i32 s5, s29, s13
	s_add_i32 s35, s10, s11
	s_lshl_b64 s[4:5], s[4:5], 3
	s_lshl_b64 s[10:11], s[34:35], 3
	s_mul_i32 s17, s17, s15
	s_delay_alu instid0(VALU_DEP_1)
	v_mov_b32_e32 v2, v3
	s_add_u32 s10, s10, s4
	s_addc_u32 s11, s11, s5
	s_lshl_b64 s[4:5], s[8:9], 3
	s_mul_hi_u32 s20, s16, s15
	s_add_u32 s4, s10, s4
	s_addc_u32 s5, s11, s5
	s_add_u32 s6, s6, s4
	s_mul_i32 s14, s16, s15
	s_addc_u32 s7, s7, s5
	s_add_i32 s15, s20, s17
	v_add_co_u32 v4, s6, s6, v6
	s_lshl_b64 s[4:5], s[24:25], 3
	v_lshlrev_b64 v[1:2], 3, v[1:2]
	s_waitcnt lgkmcnt(0)
	v_mul_f32_e64 v3, s3, s19
	v_add_co_ci_u32_e64 v7, null, s7, 0, s6
	s_lshl_b64 s[6:7], s[14:15], 3
	s_add_u32 s0, s0, s4
	s_addc_u32 s1, s1, s5
	s_add_u32 s0, s0, s6
	v_fma_f32 v6, s2, s18, -v3
	s_addc_u32 s1, s1, s7
	v_add_co_u32 v3, vcc_lo, s0, v1
	v_add_co_ci_u32_e32 v8, vcc_lo, s1, v2, vcc_lo
	v_mul_f32_e64 v5, s2, s19
	v_add_co_u32 v1, vcc_lo, v4, 4
	v_add_co_ci_u32_e32 v2, vcc_lo, 0, v7, vcc_lo
	v_add_co_u32 v3, vcc_lo, v3, 4
	s_delay_alu instid0(VALU_DEP_4)
	v_fmac_f32_e64 v5, s3, s18
	v_add_co_ci_u32_e32 v4, vcc_lo, 0, v8, vcc_lo
	s_mov_b32 s1, 0
	s_lshl_b64 s[2:3], s[26:27], 13
	.p2align	6
.LBB18_3:                               ; =>This Inner Loop Header: Depth=1
	global_load_b64 v[7:8], v[3:4], off offset:-4
	global_load_b64 v[9:10], v[1:2], off offset:-4
	v_add_co_u32 v3, vcc_lo, v3, s2
	v_add_co_ci_u32_e32 v4, vcc_lo, s3, v4, vcc_lo
	s_waitcnt vmcnt(1)
	v_mul_f32_e32 v11, v5, v8
	v_mul_f32_e32 v8, v6, v8
	s_delay_alu instid0(VALU_DEP_2) | instskip(NEXT) | instid1(VALU_DEP_2)
	v_fma_f32 v11, v6, v7, -v11
	v_fmac_f32_e32 v8, v5, v7
	s_waitcnt vmcnt(0)
	s_delay_alu instid0(VALU_DEP_2) | instskip(NEXT) | instid1(VALU_DEP_2)
	v_dual_add_f32 v7, v9, v11 :: v_dual_add_nc_u32 v0, 0x400, v0
	v_add_f32_e32 v8, v10, v8
	s_delay_alu instid0(VALU_DEP_2) | instskip(SKIP_2) | instid1(VALU_DEP_1)
	v_cmp_le_i32_e32 vcc_lo, s12, v0
	global_store_b64 v[1:2], v[7:8], off offset:-4
	v_add_co_u32 v1, s0, 0x2000, v1
	v_add_co_ci_u32_e64 v2, s0, 0, v2, s0
	s_or_b32 s1, vcc_lo, s1
	s_delay_alu instid0(SALU_CYCLE_1)
	s_and_not1_b32 exec_lo, exec_lo, s1
	s_cbranch_execnz .LBB18_3
.LBB18_4:
	s_nop 0
	s_sendmsg sendmsg(MSG_DEALLOC_VGPRS)
	s_endpgm
	.section	.rodata,"a",@progbits
	.p2align	6, 0x0
	.amdhsa_kernel _ZL19rocblas_sger_kernelILi1024E19rocblas_complex_numIfES1_PKS1_PS1_EviiT1_lT2_lllS6_lllT3_lmli
		.amdhsa_group_segment_fixed_size 0
		.amdhsa_private_segment_fixed_size 0
		.amdhsa_kernarg_size 124
		.amdhsa_user_sgpr_count 14
		.amdhsa_user_sgpr_dispatch_ptr 0
		.amdhsa_user_sgpr_queue_ptr 0
		.amdhsa_user_sgpr_kernarg_segment_ptr 1
		.amdhsa_user_sgpr_dispatch_id 0
		.amdhsa_user_sgpr_private_segment_size 0
		.amdhsa_wavefront_size32 1
		.amdhsa_uses_dynamic_stack 0
		.amdhsa_enable_private_segment 0
		.amdhsa_system_sgpr_workgroup_id_x 1
		.amdhsa_system_sgpr_workgroup_id_y 0
		.amdhsa_system_sgpr_workgroup_id_z 1
		.amdhsa_system_sgpr_workgroup_info 0
		.amdhsa_system_vgpr_workitem_id 0
		.amdhsa_next_free_vgpr 12
		.amdhsa_next_free_sgpr 36
		.amdhsa_reserve_vcc 1
		.amdhsa_float_round_mode_32 0
		.amdhsa_float_round_mode_16_64 0
		.amdhsa_float_denorm_mode_32 3
		.amdhsa_float_denorm_mode_16_64 3
		.amdhsa_dx10_clamp 1
		.amdhsa_ieee_mode 1
		.amdhsa_fp16_overflow 0
		.amdhsa_workgroup_processor_mode 1
		.amdhsa_memory_ordered 1
		.amdhsa_forward_progress 0
		.amdhsa_shared_vgpr_count 0
		.amdhsa_exception_fp_ieee_invalid_op 0
		.amdhsa_exception_fp_denorm_src 0
		.amdhsa_exception_fp_ieee_div_zero 0
		.amdhsa_exception_fp_ieee_overflow 0
		.amdhsa_exception_fp_ieee_underflow 0
		.amdhsa_exception_fp_ieee_inexact 0
		.amdhsa_exception_int_div_zero 0
	.end_amdhsa_kernel
	.section	.text._ZL19rocblas_sger_kernelILi1024E19rocblas_complex_numIfES1_PKS1_PS1_EviiT1_lT2_lllS6_lllT3_lmli,"axG",@progbits,_ZL19rocblas_sger_kernelILi1024E19rocblas_complex_numIfES1_PKS1_PS1_EviiT1_lT2_lllS6_lllT3_lmli,comdat
.Lfunc_end18:
	.size	_ZL19rocblas_sger_kernelILi1024E19rocblas_complex_numIfES1_PKS1_PS1_EviiT1_lT2_lllS6_lllT3_lmli, .Lfunc_end18-_ZL19rocblas_sger_kernelILi1024E19rocblas_complex_numIfES1_PKS1_PS1_EviiT1_lT2_lllS6_lllT3_lmli
                                        ; -- End function
	.section	.AMDGPU.csdata,"",@progbits
; Kernel info:
; codeLenInByte = 608
; NumSgprs: 38
; NumVgprs: 12
; ScratchSize: 0
; MemoryBound: 0
; FloatMode: 240
; IeeeMode: 1
; LDSByteSize: 0 bytes/workgroup (compile time only)
; SGPRBlocks: 4
; VGPRBlocks: 1
; NumSGPRsForWavesPerEU: 38
; NumVGPRsForWavesPerEU: 12
; Occupancy: 16
; WaveLimiterHint : 0
; COMPUTE_PGM_RSRC2:SCRATCH_EN: 0
; COMPUTE_PGM_RSRC2:USER_SGPR: 14
; COMPUTE_PGM_RSRC2:TRAP_HANDLER: 0
; COMPUTE_PGM_RSRC2:TGID_X_EN: 1
; COMPUTE_PGM_RSRC2:TGID_Y_EN: 0
; COMPUTE_PGM_RSRC2:TGID_Z_EN: 1
; COMPUTE_PGM_RSRC2:TIDIG_COMP_CNT: 0
	.section	.text._ZL18rocblas_ger_kernelILi32ELi32ELi2ELb0E19rocblas_complex_numIfEPKS1_S3_PS1_EviiT4_lT5_lllS6_lllT6_lmli,"axG",@progbits,_ZL18rocblas_ger_kernelILi32ELi32ELi2ELb0E19rocblas_complex_numIfEPKS1_S3_PS1_EviiT4_lT5_lllS6_lllT6_lmli,comdat
	.globl	_ZL18rocblas_ger_kernelILi32ELi32ELi2ELb0E19rocblas_complex_numIfEPKS1_S3_PS1_EviiT4_lT5_lllS6_lllT6_lmli ; -- Begin function _ZL18rocblas_ger_kernelILi32ELi32ELi2ELb0E19rocblas_complex_numIfEPKS1_S3_PS1_EviiT4_lT5_lllS6_lllT6_lmli
	.p2align	8
	.type	_ZL18rocblas_ger_kernelILi32ELi32ELi2ELb0E19rocblas_complex_numIfEPKS1_S3_PS1_EviiT4_lT5_lllS6_lllT6_lmli,@function
_ZL18rocblas_ger_kernelILi32ELi32ELi2ELb0E19rocblas_complex_numIfEPKS1_S3_PS1_EviiT4_lT5_lllS6_lllT6_lmli: ; @_ZL18rocblas_ger_kernelILi32ELi32ELi2ELb0E19rocblas_complex_numIfEPKS1_S3_PS1_EviiT4_lT5_lllS6_lllT6_lmli
; %bb.0:
	s_clause 0x1
	s_load_b64 s[4:5], s[0:1], 0x0
	s_load_b128 s[8:11], s[0:1], 0x8
	s_waitcnt lgkmcnt(0)
	s_add_i32 s2, s4, -1
	s_mul_i32 s7, s15, s11
	s_ashr_i32 s3, s2, 31
	s_mul_hi_u32 s11, s15, s10
	s_lshr_b32 s3, s3, 27
	s_mul_i32 s6, s15, s10
	s_add_i32 s2, s2, s3
	s_add_i32 s7, s11, s7
	s_ashr_i32 s2, s2, 5
	s_lshl_b64 s[6:7], s[6:7], 3
	s_add_i32 s11, s2, 1
	s_add_u32 s6, s8, s6
	v_cvt_f32_u32_e32 v1, s11
	s_addc_u32 s7, s9, s7
	s_load_b64 s[6:7], s[6:7], 0x0
	s_delay_alu instid0(VALU_DEP_1) | instskip(SKIP_2) | instid1(VALU_DEP_1)
	v_rcp_iflag_f32_e32 v1, v1
	s_waitcnt_depctr 0xfff
	v_mul_f32_e32 v1, 0x4f7ffffe, v1
	v_cvt_u32_f32_e32 v1, v1
	s_waitcnt lgkmcnt(0)
	s_or_b32 s8, s6, s7
	s_delay_alu instid0(SALU_CYCLE_1) | instskip(NEXT) | instid1(VALU_DEP_1)
	s_bitset0_b32 s8, 31
	v_readfirstlane_b32 s3, v1
	s_cmp_eq_u32 s8, 0
	s_cbranch_scc1 .LBB19_14
; %bb.1:
	s_not_b32 s2, s2
	v_and_b32_e32 v3, 0x3ff, v0
	s_mul_i32 s2, s2, s3
	v_bfe_u32 v4, v0, 10, 10
	s_mul_hi_u32 s2, s3, s2
	s_delay_alu instid0(SALU_CYCLE_1) | instskip(NEXT) | instid1(SALU_CYCLE_1)
	s_add_i32 s3, s3, s2
	s_mul_hi_u32 s10, s14, s3
	s_clause 0x1
	s_load_b64 s[8:9], s[0:1], 0x58
	s_load_b64 s[2:3], s[0:1], 0x38
	s_mul_i32 s12, s10, s11
	s_add_i32 s13, s10, 1
	s_sub_i32 s12, s14, s12
	s_delay_alu instid0(SALU_CYCLE_1)
	s_sub_i32 s16, s12, s11
	s_cmp_ge_u32 s12, s11
	s_cselect_b32 s10, s13, s10
	s_cselect_b32 s12, s16, s12
	s_add_i32 s13, s10, 1
	s_cmp_ge_u32 s12, s11
	s_cselect_b32 s10, s13, s10
	s_delay_alu instid0(SALU_CYCLE_1) | instskip(NEXT) | instid1(SALU_CYCLE_1)
	s_mul_i32 s11, s10, s11
	s_sub_i32 s11, s14, s11
	s_delay_alu instid0(SALU_CYCLE_1)
	v_lshl_add_u32 v0, s11, 5, v3
	s_mov_b32 s11, exec_lo
	v_cmpx_eq_u32_e32 0, v4
	s_cbranch_execz .LBB19_5
; %bb.2:
	v_dual_mov_b32 v1, 0 :: v_dual_mov_b32 v2, 0
	s_mov_b32 s12, exec_lo
	v_cmpx_gt_i32_e64 s4, v0
	s_cbranch_execz .LBB19_4
; %bb.3:
	s_clause 0x2
	s_load_b128 s[16:19], s[0:1], 0x20
	s_load_b64 s[20:21], s[0:1], 0x30
	s_load_b64 s[22:23], s[0:1], 0x18
	v_ashrrev_i32_e32 v1, 31, v0
	s_waitcnt lgkmcnt(0)
	v_mul_lo_u32 v5, v0, s19
	s_delay_alu instid0(VALU_DEP_2)
	v_mul_lo_u32 v6, v1, s18
	v_mad_u64_u32 v[1:2], null, v0, s18, 0
	s_mul_i32 s13, s15, s21
	s_mul_hi_u32 s14, s15, s20
	s_mul_i32 s18, s15, s20
	s_add_i32 s19, s14, s13
	s_delay_alu instid0(SALU_CYCLE_1) | instskip(NEXT) | instid1(VALU_DEP_1)
	s_lshl_b64 s[18:19], s[18:19], 3
	v_add3_u32 v2, v2, v5, v6
	s_add_u32 s13, s22, s18
	s_addc_u32 s14, s23, s19
	s_lshl_b64 s[16:17], s[16:17], 3
	s_delay_alu instid0(VALU_DEP_1) | instskip(SKIP_2) | instid1(VALU_DEP_1)
	v_lshlrev_b64 v[1:2], 3, v[1:2]
	s_add_u32 s13, s13, s16
	s_addc_u32 s14, s14, s17
	v_add_co_u32 v1, vcc_lo, s13, v1
	s_delay_alu instid0(VALU_DEP_2)
	v_add_co_ci_u32_e32 v2, vcc_lo, s14, v2, vcc_lo
	global_load_b64 v[1:2], v[1:2], off
.LBB19_4:
	s_or_b32 exec_lo, exec_lo, s12
	v_lshlrev_b32_e32 v5, 3, v3
	s_waitcnt vmcnt(0)
	ds_store_b64 v5, v[1:2] offset:512
.LBB19_5:
	s_or_b32 exec_lo, exec_lo, s11
	v_lshlrev_b32_e32 v5, 1, v4
	s_delay_alu instid0(VALU_DEP_1)
	v_lshl_add_u32 v4, s10, 6, v5
	s_mov_b32 s10, exec_lo
	v_cmpx_gt_u32_e32 2, v3
	s_cbranch_execz .LBB19_9
; %bb.6:
	s_delay_alu instid0(VALU_DEP_2) | instskip(SKIP_2) | instid1(VALU_DEP_2)
	v_or_b32_e32 v6, v4, v3
	v_dual_mov_b32 v1, 0 :: v_dual_mov_b32 v2, 0
	s_mov_b32 s11, exec_lo
	v_cmpx_gt_u32_e64 s5, v6
	s_cbranch_execz .LBB19_8
; %bb.7:
	s_clause 0x1
	s_load_b128 s[16:19], s[0:1], 0x40
	s_load_b64 s[12:13], s[0:1], 0x50
	s_waitcnt lgkmcnt(0)
	v_mad_u64_u32 v[1:2], null, v6, s18, 0
	s_mul_i32 s13, s15, s13
	s_mul_hi_u32 s14, s15, s12
	s_mul_i32 s12, s15, s12
	s_add_i32 s13, s14, s13
	s_delay_alu instid0(SALU_CYCLE_1) | instskip(NEXT) | instid1(VALU_DEP_1)
	s_lshl_b64 s[12:13], s[12:13], 3
	v_mad_u64_u32 v[7:8], null, v6, s19, v[2:3]
	s_add_u32 s12, s2, s12
	s_addc_u32 s13, s3, s13
	s_lshl_b64 s[2:3], s[16:17], 3
	s_delay_alu instid0(SALU_CYCLE_1) | instskip(SKIP_1) | instid1(VALU_DEP_1)
	s_add_u32 s2, s12, s2
	s_addc_u32 s3, s13, s3
	v_mov_b32_e32 v2, v7
	s_delay_alu instid0(VALU_DEP_1) | instskip(NEXT) | instid1(VALU_DEP_1)
	v_lshlrev_b64 v[1:2], 3, v[1:2]
	v_add_co_u32 v1, vcc_lo, s2, v1
	s_delay_alu instid0(VALU_DEP_2)
	v_add_co_ci_u32_e32 v2, vcc_lo, s3, v2, vcc_lo
	global_load_b64 v[1:2], v[1:2], off
.LBB19_8:
	s_or_b32 exec_lo, exec_lo, s11
	v_or_b32_e32 v6, v5, v3
	s_delay_alu instid0(VALU_DEP_1)
	v_lshlrev_b32_e32 v6, 3, v6
	s_waitcnt vmcnt(0)
	ds_store_b64 v6, v[1:2]
.LBB19_9:
	s_or_b32 exec_lo, exec_lo, s10
	s_waitcnt lgkmcnt(0)
	s_barrier
	buffer_gl0_inv
	s_mov_b32 s2, exec_lo
	v_cmpx_gt_i32_e64 s4, v0
	s_cbranch_execz .LBB19_14
; %bb.10:
	s_load_b64 s[10:11], s[0:1], 0x70
	v_lshlrev_b32_e32 v1, 3, v3
	s_load_b128 s[0:3], s[0:1], 0x60
	ds_load_b64 v[6:7], v1 offset:512
	v_ashrrev_i32_e32 v1, 31, v0
	s_waitcnt lgkmcnt(0)
	s_mul_i32 s4, s15, s11
	s_mul_hi_u32 s11, s15, s10
	s_mul_i32 s10, s15, s10
	s_add_i32 s11, s11, s4
	s_delay_alu instid0(SALU_CYCLE_1)
	s_lshl_b64 s[10:11], s[10:11], 3
	v_mul_f32_e32 v3, s7, v7
	v_mul_f32_e32 v2, s6, v7
	v_lshlrev_b64 v[7:8], 3, v[0:1]
	v_lshlrev_b32_e32 v1, 3, v5
	s_add_u32 s4, s8, s10
	s_addc_u32 s8, s9, s11
	s_lshl_b64 s[0:1], s[0:1], 3
	v_fma_f32 v0, v6, s6, -v3
	s_add_u32 s0, s4, s0
	s_addc_u32 s1, s8, s1
	v_add_co_u32 v3, s0, s0, v7
	v_fmac_f32_e32 v2, s7, v6
	v_add_co_ci_u32_e64 v6, s0, s1, v8, s0
	s_mov_b32 s0, exec_lo
	v_cmpx_gt_i32_e64 s5, v4
	s_cbranch_execz .LBB19_12
; %bb.11:
	v_ashrrev_i32_e32 v5, 31, v4
	v_mul_lo_u32 v9, v4, s3
	v_mad_u64_u32 v[7:8], null, v4, s2, 0
	ds_load_b64 v[11:12], v1
	v_mul_lo_u32 v5, v5, s2
	s_delay_alu instid0(VALU_DEP_1) | instskip(NEXT) | instid1(VALU_DEP_1)
	v_add3_u32 v8, v8, v9, v5
	v_lshlrev_b64 v[7:8], 3, v[7:8]
	s_waitcnt lgkmcnt(0)
	v_mul_f32_e32 v5, v2, v12
	s_delay_alu instid0(VALU_DEP_2) | instskip(NEXT) | instid1(VALU_DEP_3)
	v_add_co_u32 v7, vcc_lo, v3, v7
	v_add_co_ci_u32_e32 v8, vcc_lo, v6, v8, vcc_lo
	s_delay_alu instid0(VALU_DEP_3) | instskip(SKIP_3) | instid1(VALU_DEP_1)
	v_fma_f32 v5, v0, v11, -v5
	global_load_b64 v[9:10], v[7:8], off
	s_waitcnt vmcnt(0)
	v_dual_mul_f32 v12, v0, v12 :: v_dual_add_f32 v9, v9, v5
	v_fmac_f32_e32 v12, v2, v11
	s_delay_alu instid0(VALU_DEP_1)
	v_add_f32_e32 v10, v10, v12
	global_store_b64 v[7:8], v[9:10], off
.LBB19_12:
	s_or_b32 exec_lo, exec_lo, s0
	v_or_b32_e32 v4, 1, v4
	s_delay_alu instid0(VALU_DEP_1)
	v_cmp_gt_i32_e32 vcc_lo, s5, v4
	s_and_b32 exec_lo, exec_lo, vcc_lo
	s_cbranch_execz .LBB19_14
; %bb.13:
	v_ashrrev_i32_e32 v5, 31, v4
	v_mul_lo_u32 v9, v4, s3
	v_mad_u64_u32 v[7:8], null, v4, s2, 0
	s_delay_alu instid0(VALU_DEP_3) | instskip(NEXT) | instid1(VALU_DEP_1)
	v_mul_lo_u32 v4, v5, s2
	v_add3_u32 v8, v8, v9, v4
	s_delay_alu instid0(VALU_DEP_1)
	v_lshlrev_b64 v[4:5], 3, v[7:8]
	ds_load_b64 v[7:8], v1 offset:8
	v_add_co_u32 v3, vcc_lo, v3, v4
	v_add_co_ci_u32_e32 v4, vcc_lo, v6, v5, vcc_lo
	global_load_b64 v[5:6], v[3:4], off
	s_waitcnt lgkmcnt(0)
	v_mul_f32_e32 v1, v2, v8
	v_mul_f32_e32 v8, v0, v8
	s_delay_alu instid0(VALU_DEP_2) | instskip(NEXT) | instid1(VALU_DEP_2)
	v_fma_f32 v0, v0, v7, -v1
	v_fmac_f32_e32 v8, v2, v7
	s_waitcnt vmcnt(0)
	s_delay_alu instid0(VALU_DEP_2) | instskip(NEXT) | instid1(VALU_DEP_2)
	v_add_f32_e32 v0, v5, v0
	v_add_f32_e32 v1, v6, v8
	global_store_b64 v[3:4], v[0:1], off
.LBB19_14:
	s_nop 0
	s_sendmsg sendmsg(MSG_DEALLOC_VGPRS)
	s_endpgm
	.section	.rodata,"a",@progbits
	.p2align	6, 0x0
	.amdhsa_kernel _ZL18rocblas_ger_kernelILi32ELi32ELi2ELb0E19rocblas_complex_numIfEPKS1_S3_PS1_EviiT4_lT5_lllS6_lllT6_lmli
		.amdhsa_group_segment_fixed_size 768
		.amdhsa_private_segment_fixed_size 0
		.amdhsa_kernarg_size 124
		.amdhsa_user_sgpr_count 14
		.amdhsa_user_sgpr_dispatch_ptr 0
		.amdhsa_user_sgpr_queue_ptr 0
		.amdhsa_user_sgpr_kernarg_segment_ptr 1
		.amdhsa_user_sgpr_dispatch_id 0
		.amdhsa_user_sgpr_private_segment_size 0
		.amdhsa_wavefront_size32 1
		.amdhsa_uses_dynamic_stack 0
		.amdhsa_enable_private_segment 0
		.amdhsa_system_sgpr_workgroup_id_x 1
		.amdhsa_system_sgpr_workgroup_id_y 0
		.amdhsa_system_sgpr_workgroup_id_z 1
		.amdhsa_system_sgpr_workgroup_info 0
		.amdhsa_system_vgpr_workitem_id 1
		.amdhsa_next_free_vgpr 13
		.amdhsa_next_free_sgpr 24
		.amdhsa_reserve_vcc 1
		.amdhsa_float_round_mode_32 0
		.amdhsa_float_round_mode_16_64 0
		.amdhsa_float_denorm_mode_32 3
		.amdhsa_float_denorm_mode_16_64 3
		.amdhsa_dx10_clamp 1
		.amdhsa_ieee_mode 1
		.amdhsa_fp16_overflow 0
		.amdhsa_workgroup_processor_mode 1
		.amdhsa_memory_ordered 1
		.amdhsa_forward_progress 0
		.amdhsa_shared_vgpr_count 0
		.amdhsa_exception_fp_ieee_invalid_op 0
		.amdhsa_exception_fp_denorm_src 0
		.amdhsa_exception_fp_ieee_div_zero 0
		.amdhsa_exception_fp_ieee_overflow 0
		.amdhsa_exception_fp_ieee_underflow 0
		.amdhsa_exception_fp_ieee_inexact 0
		.amdhsa_exception_int_div_zero 0
	.end_amdhsa_kernel
	.section	.text._ZL18rocblas_ger_kernelILi32ELi32ELi2ELb0E19rocblas_complex_numIfEPKS1_S3_PS1_EviiT4_lT5_lllS6_lllT6_lmli,"axG",@progbits,_ZL18rocblas_ger_kernelILi32ELi32ELi2ELb0E19rocblas_complex_numIfEPKS1_S3_PS1_EviiT4_lT5_lllS6_lllT6_lmli,comdat
.Lfunc_end19:
	.size	_ZL18rocblas_ger_kernelILi32ELi32ELi2ELb0E19rocblas_complex_numIfEPKS1_S3_PS1_EviiT4_lT5_lllS6_lllT6_lmli, .Lfunc_end19-_ZL18rocblas_ger_kernelILi32ELi32ELi2ELb0E19rocblas_complex_numIfEPKS1_S3_PS1_EviiT4_lT5_lllS6_lllT6_lmli
                                        ; -- End function
	.section	.AMDGPU.csdata,"",@progbits
; Kernel info:
; codeLenInByte = 1176
; NumSgprs: 26
; NumVgprs: 13
; ScratchSize: 0
; MemoryBound: 0
; FloatMode: 240
; IeeeMode: 1
; LDSByteSize: 768 bytes/workgroup (compile time only)
; SGPRBlocks: 3
; VGPRBlocks: 1
; NumSGPRsForWavesPerEU: 26
; NumVGPRsForWavesPerEU: 13
; Occupancy: 16
; WaveLimiterHint : 0
; COMPUTE_PGM_RSRC2:SCRATCH_EN: 0
; COMPUTE_PGM_RSRC2:USER_SGPR: 14
; COMPUTE_PGM_RSRC2:TRAP_HANDLER: 0
; COMPUTE_PGM_RSRC2:TGID_X_EN: 1
; COMPUTE_PGM_RSRC2:TGID_Y_EN: 0
; COMPUTE_PGM_RSRC2:TGID_Z_EN: 1
; COMPUTE_PGM_RSRC2:TIDIG_COMP_CNT: 1
	.section	.text._ZL18rocblas_ger_kernelILi32ELi32ELi2ELb0E19rocblas_complex_numIfES1_PKS1_PS1_EviiT4_lT5_lllS6_lllT6_lmli,"axG",@progbits,_ZL18rocblas_ger_kernelILi32ELi32ELi2ELb0E19rocblas_complex_numIfES1_PKS1_PS1_EviiT4_lT5_lllS6_lllT6_lmli,comdat
	.globl	_ZL18rocblas_ger_kernelILi32ELi32ELi2ELb0E19rocblas_complex_numIfES1_PKS1_PS1_EviiT4_lT5_lllS6_lllT6_lmli ; -- Begin function _ZL18rocblas_ger_kernelILi32ELi32ELi2ELb0E19rocblas_complex_numIfES1_PKS1_PS1_EviiT4_lT5_lllS6_lllT6_lmli
	.p2align	8
	.type	_ZL18rocblas_ger_kernelILi32ELi32ELi2ELb0E19rocblas_complex_numIfES1_PKS1_PS1_EviiT4_lT5_lllS6_lllT6_lmli,@function
_ZL18rocblas_ger_kernelILi32ELi32ELi2ELb0E19rocblas_complex_numIfES1_PKS1_PS1_EviiT4_lT5_lllS6_lllT6_lmli: ; @_ZL18rocblas_ger_kernelILi32ELi32ELi2ELb0E19rocblas_complex_numIfES1_PKS1_PS1_EviiT4_lT5_lllS6_lllT6_lmli
; %bb.0:
	s_load_b128 s[4:7], s[0:1], 0x0
	s_waitcnt lgkmcnt(0)
	s_add_i32 s2, s4, -1
	s_or_b32 s8, s6, s7
	s_ashr_i32 s3, s2, 31
	s_bitset0_b32 s8, 31
	s_lshr_b32 s3, s3, 27
	s_delay_alu instid0(SALU_CYCLE_1) | instskip(NEXT) | instid1(SALU_CYCLE_1)
	s_add_i32 s2, s2, s3
	s_ashr_i32 s2, s2, 5
	s_delay_alu instid0(SALU_CYCLE_1) | instskip(SKIP_2) | instid1(VALU_DEP_1)
	s_add_i32 s11, s2, 1
	s_cmp_eq_u32 s8, 0
	v_cvt_f32_u32_e32 v1, s11
	v_rcp_iflag_f32_e32 v1, v1
	s_waitcnt_depctr 0xfff
	v_mul_f32_e32 v1, 0x4f7ffffe, v1
	s_delay_alu instid0(VALU_DEP_1) | instskip(NEXT) | instid1(VALU_DEP_1)
	v_cvt_u32_f32_e32 v1, v1
	v_readfirstlane_b32 s3, v1
	s_cbranch_scc1 .LBB20_14
; %bb.1:
	s_not_b32 s2, s2
	v_and_b32_e32 v3, 0x3ff, v0
	s_delay_alu instid0(VALU_DEP_2) | instskip(SKIP_2) | instid1(SALU_CYCLE_1)
	s_mul_i32 s2, s2, s3
	v_bfe_u32 v4, v0, 10, 10
	s_mul_hi_u32 s2, s3, s2
	s_add_i32 s3, s3, s2
	s_delay_alu instid0(SALU_CYCLE_1)
	s_mul_hi_u32 s10, s14, s3
	s_clause 0x1
	s_load_b64 s[8:9], s[0:1], 0x58
	s_load_b64 s[2:3], s[0:1], 0x38
	s_mul_i32 s12, s10, s11
	s_add_i32 s13, s10, 1
	s_sub_i32 s12, s14, s12
	s_delay_alu instid0(SALU_CYCLE_1)
	s_sub_i32 s16, s12, s11
	s_cmp_ge_u32 s12, s11
	s_cselect_b32 s10, s13, s10
	s_cselect_b32 s12, s16, s12
	s_add_i32 s13, s10, 1
	s_cmp_ge_u32 s12, s11
	s_cselect_b32 s10, s13, s10
	s_delay_alu instid0(SALU_CYCLE_1) | instskip(NEXT) | instid1(SALU_CYCLE_1)
	s_mul_i32 s11, s10, s11
	s_sub_i32 s11, s14, s11
	s_delay_alu instid0(SALU_CYCLE_1)
	v_lshl_add_u32 v0, s11, 5, v3
	s_mov_b32 s11, exec_lo
	v_cmpx_eq_u32_e32 0, v4
	s_cbranch_execz .LBB20_5
; %bb.2:
	v_dual_mov_b32 v1, 0 :: v_dual_mov_b32 v2, 0
	s_mov_b32 s12, exec_lo
	v_cmpx_gt_i32_e64 s4, v0
	s_cbranch_execz .LBB20_4
; %bb.3:
	s_clause 0x2
	s_load_b128 s[16:19], s[0:1], 0x20
	s_load_b64 s[20:21], s[0:1], 0x30
	s_load_b64 s[22:23], s[0:1], 0x18
	v_ashrrev_i32_e32 v1, 31, v0
	s_waitcnt lgkmcnt(0)
	v_mul_lo_u32 v5, v0, s19
	s_delay_alu instid0(VALU_DEP_2)
	v_mul_lo_u32 v6, v1, s18
	v_mad_u64_u32 v[1:2], null, v0, s18, 0
	s_mul_i32 s13, s15, s21
	s_mul_hi_u32 s14, s15, s20
	s_mul_i32 s18, s15, s20
	s_add_i32 s19, s14, s13
	s_delay_alu instid0(SALU_CYCLE_1) | instskip(NEXT) | instid1(VALU_DEP_1)
	s_lshl_b64 s[18:19], s[18:19], 3
	v_add3_u32 v2, v2, v5, v6
	s_add_u32 s13, s22, s18
	s_addc_u32 s14, s23, s19
	s_lshl_b64 s[16:17], s[16:17], 3
	s_delay_alu instid0(VALU_DEP_1) | instskip(SKIP_2) | instid1(VALU_DEP_1)
	v_lshlrev_b64 v[1:2], 3, v[1:2]
	s_add_u32 s13, s13, s16
	s_addc_u32 s14, s14, s17
	v_add_co_u32 v1, vcc_lo, s13, v1
	s_delay_alu instid0(VALU_DEP_2)
	v_add_co_ci_u32_e32 v2, vcc_lo, s14, v2, vcc_lo
	global_load_b64 v[1:2], v[1:2], off
.LBB20_4:
	s_or_b32 exec_lo, exec_lo, s12
	v_lshlrev_b32_e32 v5, 3, v3
	s_waitcnt vmcnt(0)
	ds_store_b64 v5, v[1:2] offset:512
.LBB20_5:
	s_or_b32 exec_lo, exec_lo, s11
	v_lshlrev_b32_e32 v5, 1, v4
	s_delay_alu instid0(VALU_DEP_1)
	v_lshl_add_u32 v4, s10, 6, v5
	s_mov_b32 s10, exec_lo
	v_cmpx_gt_u32_e32 2, v3
	s_cbranch_execz .LBB20_9
; %bb.6:
	s_delay_alu instid0(VALU_DEP_2) | instskip(SKIP_2) | instid1(VALU_DEP_2)
	v_or_b32_e32 v6, v4, v3
	v_dual_mov_b32 v1, 0 :: v_dual_mov_b32 v2, 0
	s_mov_b32 s11, exec_lo
	v_cmpx_gt_u32_e64 s5, v6
	s_cbranch_execz .LBB20_8
; %bb.7:
	s_clause 0x1
	s_load_b128 s[16:19], s[0:1], 0x40
	s_load_b64 s[12:13], s[0:1], 0x50
	s_waitcnt lgkmcnt(0)
	v_mad_u64_u32 v[1:2], null, v6, s18, 0
	s_mul_i32 s13, s15, s13
	s_mul_hi_u32 s14, s15, s12
	s_mul_i32 s12, s15, s12
	s_add_i32 s13, s14, s13
	s_delay_alu instid0(SALU_CYCLE_1) | instskip(NEXT) | instid1(VALU_DEP_1)
	s_lshl_b64 s[12:13], s[12:13], 3
	v_mad_u64_u32 v[7:8], null, v6, s19, v[2:3]
	s_add_u32 s12, s2, s12
	s_addc_u32 s13, s3, s13
	s_lshl_b64 s[2:3], s[16:17], 3
	s_delay_alu instid0(SALU_CYCLE_1) | instskip(SKIP_1) | instid1(VALU_DEP_1)
	s_add_u32 s2, s12, s2
	s_addc_u32 s3, s13, s3
	v_mov_b32_e32 v2, v7
	s_delay_alu instid0(VALU_DEP_1) | instskip(NEXT) | instid1(VALU_DEP_1)
	v_lshlrev_b64 v[1:2], 3, v[1:2]
	v_add_co_u32 v1, vcc_lo, s2, v1
	s_delay_alu instid0(VALU_DEP_2)
	v_add_co_ci_u32_e32 v2, vcc_lo, s3, v2, vcc_lo
	global_load_b64 v[1:2], v[1:2], off
.LBB20_8:
	s_or_b32 exec_lo, exec_lo, s11
	v_or_b32_e32 v6, v5, v3
	s_delay_alu instid0(VALU_DEP_1)
	v_lshlrev_b32_e32 v6, 3, v6
	s_waitcnt vmcnt(0)
	ds_store_b64 v6, v[1:2]
.LBB20_9:
	s_or_b32 exec_lo, exec_lo, s10
	s_waitcnt lgkmcnt(0)
	s_barrier
	buffer_gl0_inv
	s_mov_b32 s2, exec_lo
	v_cmpx_gt_i32_e64 s4, v0
	s_cbranch_execz .LBB20_14
; %bb.10:
	s_load_b64 s[10:11], s[0:1], 0x70
	v_lshlrev_b32_e32 v1, 3, v3
	s_load_b128 s[0:3], s[0:1], 0x60
	ds_load_b64 v[6:7], v1 offset:512
	v_ashrrev_i32_e32 v1, 31, v0
	s_waitcnt lgkmcnt(0)
	s_mul_i32 s4, s15, s11
	s_mul_hi_u32 s11, s15, s10
	s_mul_i32 s10, s15, s10
	s_add_i32 s11, s11, s4
	s_delay_alu instid0(SALU_CYCLE_1)
	s_lshl_b64 s[10:11], s[10:11], 3
	v_mul_f32_e32 v3, s7, v7
	v_mul_f32_e32 v2, s6, v7
	v_lshlrev_b64 v[7:8], 3, v[0:1]
	v_lshlrev_b32_e32 v1, 3, v5
	s_add_u32 s4, s8, s10
	s_addc_u32 s8, s9, s11
	s_lshl_b64 s[0:1], s[0:1], 3
	v_fma_f32 v0, v6, s6, -v3
	s_add_u32 s0, s4, s0
	s_addc_u32 s1, s8, s1
	v_add_co_u32 v3, s0, s0, v7
	v_fmac_f32_e32 v2, s7, v6
	v_add_co_ci_u32_e64 v6, s0, s1, v8, s0
	s_mov_b32 s0, exec_lo
	v_cmpx_gt_i32_e64 s5, v4
	s_cbranch_execz .LBB20_12
; %bb.11:
	v_ashrrev_i32_e32 v5, 31, v4
	v_mul_lo_u32 v9, v4, s3
	v_mad_u64_u32 v[7:8], null, v4, s2, 0
	ds_load_b64 v[11:12], v1
	v_mul_lo_u32 v5, v5, s2
	s_delay_alu instid0(VALU_DEP_1) | instskip(NEXT) | instid1(VALU_DEP_1)
	v_add3_u32 v8, v8, v9, v5
	v_lshlrev_b64 v[7:8], 3, v[7:8]
	s_waitcnt lgkmcnt(0)
	v_mul_f32_e32 v5, v2, v12
	s_delay_alu instid0(VALU_DEP_2) | instskip(NEXT) | instid1(VALU_DEP_3)
	v_add_co_u32 v7, vcc_lo, v3, v7
	v_add_co_ci_u32_e32 v8, vcc_lo, v6, v8, vcc_lo
	s_delay_alu instid0(VALU_DEP_3) | instskip(SKIP_3) | instid1(VALU_DEP_1)
	v_fma_f32 v5, v0, v11, -v5
	global_load_b64 v[9:10], v[7:8], off
	s_waitcnt vmcnt(0)
	v_dual_mul_f32 v12, v0, v12 :: v_dual_add_f32 v9, v9, v5
	v_fmac_f32_e32 v12, v2, v11
	s_delay_alu instid0(VALU_DEP_1)
	v_add_f32_e32 v10, v10, v12
	global_store_b64 v[7:8], v[9:10], off
.LBB20_12:
	s_or_b32 exec_lo, exec_lo, s0
	v_or_b32_e32 v4, 1, v4
	s_delay_alu instid0(VALU_DEP_1)
	v_cmp_gt_i32_e32 vcc_lo, s5, v4
	s_and_b32 exec_lo, exec_lo, vcc_lo
	s_cbranch_execz .LBB20_14
; %bb.13:
	v_ashrrev_i32_e32 v5, 31, v4
	v_mul_lo_u32 v9, v4, s3
	v_mad_u64_u32 v[7:8], null, v4, s2, 0
	s_delay_alu instid0(VALU_DEP_3) | instskip(NEXT) | instid1(VALU_DEP_1)
	v_mul_lo_u32 v4, v5, s2
	v_add3_u32 v8, v8, v9, v4
	s_delay_alu instid0(VALU_DEP_1)
	v_lshlrev_b64 v[4:5], 3, v[7:8]
	ds_load_b64 v[7:8], v1 offset:8
	v_add_co_u32 v3, vcc_lo, v3, v4
	v_add_co_ci_u32_e32 v4, vcc_lo, v6, v5, vcc_lo
	global_load_b64 v[5:6], v[3:4], off
	s_waitcnt lgkmcnt(0)
	v_mul_f32_e32 v1, v2, v8
	v_mul_f32_e32 v8, v0, v8
	s_delay_alu instid0(VALU_DEP_2) | instskip(NEXT) | instid1(VALU_DEP_2)
	v_fma_f32 v0, v0, v7, -v1
	v_fmac_f32_e32 v8, v2, v7
	s_waitcnt vmcnt(0)
	s_delay_alu instid0(VALU_DEP_2) | instskip(NEXT) | instid1(VALU_DEP_2)
	v_add_f32_e32 v0, v5, v0
	v_add_f32_e32 v1, v6, v8
	global_store_b64 v[3:4], v[0:1], off
.LBB20_14:
	s_nop 0
	s_sendmsg sendmsg(MSG_DEALLOC_VGPRS)
	s_endpgm
	.section	.rodata,"a",@progbits
	.p2align	6, 0x0
	.amdhsa_kernel _ZL18rocblas_ger_kernelILi32ELi32ELi2ELb0E19rocblas_complex_numIfES1_PKS1_PS1_EviiT4_lT5_lllS6_lllT6_lmli
		.amdhsa_group_segment_fixed_size 768
		.amdhsa_private_segment_fixed_size 0
		.amdhsa_kernarg_size 124
		.amdhsa_user_sgpr_count 14
		.amdhsa_user_sgpr_dispatch_ptr 0
		.amdhsa_user_sgpr_queue_ptr 0
		.amdhsa_user_sgpr_kernarg_segment_ptr 1
		.amdhsa_user_sgpr_dispatch_id 0
		.amdhsa_user_sgpr_private_segment_size 0
		.amdhsa_wavefront_size32 1
		.amdhsa_uses_dynamic_stack 0
		.amdhsa_enable_private_segment 0
		.amdhsa_system_sgpr_workgroup_id_x 1
		.amdhsa_system_sgpr_workgroup_id_y 0
		.amdhsa_system_sgpr_workgroup_id_z 1
		.amdhsa_system_sgpr_workgroup_info 0
		.amdhsa_system_vgpr_workitem_id 1
		.amdhsa_next_free_vgpr 13
		.amdhsa_next_free_sgpr 24
		.amdhsa_reserve_vcc 1
		.amdhsa_float_round_mode_32 0
		.amdhsa_float_round_mode_16_64 0
		.amdhsa_float_denorm_mode_32 3
		.amdhsa_float_denorm_mode_16_64 3
		.amdhsa_dx10_clamp 1
		.amdhsa_ieee_mode 1
		.amdhsa_fp16_overflow 0
		.amdhsa_workgroup_processor_mode 1
		.amdhsa_memory_ordered 1
		.amdhsa_forward_progress 0
		.amdhsa_shared_vgpr_count 0
		.amdhsa_exception_fp_ieee_invalid_op 0
		.amdhsa_exception_fp_denorm_src 0
		.amdhsa_exception_fp_ieee_div_zero 0
		.amdhsa_exception_fp_ieee_overflow 0
		.amdhsa_exception_fp_ieee_underflow 0
		.amdhsa_exception_fp_ieee_inexact 0
		.amdhsa_exception_int_div_zero 0
	.end_amdhsa_kernel
	.section	.text._ZL18rocblas_ger_kernelILi32ELi32ELi2ELb0E19rocblas_complex_numIfES1_PKS1_PS1_EviiT4_lT5_lllS6_lllT6_lmli,"axG",@progbits,_ZL18rocblas_ger_kernelILi32ELi32ELi2ELb0E19rocblas_complex_numIfES1_PKS1_PS1_EviiT4_lT5_lllS6_lllT6_lmli,comdat
.Lfunc_end20:
	.size	_ZL18rocblas_ger_kernelILi32ELi32ELi2ELb0E19rocblas_complex_numIfES1_PKS1_PS1_EviiT4_lT5_lllS6_lllT6_lmli, .Lfunc_end20-_ZL18rocblas_ger_kernelILi32ELi32ELi2ELb0E19rocblas_complex_numIfES1_PKS1_PS1_EviiT4_lT5_lllS6_lllT6_lmli
                                        ; -- End function
	.section	.AMDGPU.csdata,"",@progbits
; Kernel info:
; codeLenInByte = 1132
; NumSgprs: 26
; NumVgprs: 13
; ScratchSize: 0
; MemoryBound: 0
; FloatMode: 240
; IeeeMode: 1
; LDSByteSize: 768 bytes/workgroup (compile time only)
; SGPRBlocks: 3
; VGPRBlocks: 1
; NumSGPRsForWavesPerEU: 26
; NumVGPRsForWavesPerEU: 13
; Occupancy: 16
; WaveLimiterHint : 0
; COMPUTE_PGM_RSRC2:SCRATCH_EN: 0
; COMPUTE_PGM_RSRC2:USER_SGPR: 14
; COMPUTE_PGM_RSRC2:TRAP_HANDLER: 0
; COMPUTE_PGM_RSRC2:TGID_X_EN: 1
; COMPUTE_PGM_RSRC2:TGID_Y_EN: 0
; COMPUTE_PGM_RSRC2:TGID_Z_EN: 1
; COMPUTE_PGM_RSRC2:TIDIG_COMP_CNT: 1
	.section	.text._ZL34rocblas_ger_double_buffered_kernelILb0ELi64ELi16ELi2E19rocblas_complex_numIdE24rocblas_internal_val_ptrIS1_EPKS1_PS1_EvbiiT4_lT5_lllS8_lllT6_lmli,"axG",@progbits,_ZL34rocblas_ger_double_buffered_kernelILb0ELi64ELi16ELi2E19rocblas_complex_numIdE24rocblas_internal_val_ptrIS1_EPKS1_PS1_EvbiiT4_lT5_lllS8_lllT6_lmli,comdat
	.globl	_ZL34rocblas_ger_double_buffered_kernelILb0ELi64ELi16ELi2E19rocblas_complex_numIdE24rocblas_internal_val_ptrIS1_EPKS1_PS1_EvbiiT4_lT5_lllS8_lllT6_lmli ; -- Begin function _ZL34rocblas_ger_double_buffered_kernelILb0ELi64ELi16ELi2E19rocblas_complex_numIdE24rocblas_internal_val_ptrIS1_EPKS1_PS1_EvbiiT4_lT5_lllS8_lllT6_lmli
	.p2align	8
	.type	_ZL34rocblas_ger_double_buffered_kernelILb0ELi64ELi16ELi2E19rocblas_complex_numIdE24rocblas_internal_val_ptrIS1_EPKS1_PS1_EvbiiT4_lT5_lllS8_lllT6_lmli,@function
_ZL34rocblas_ger_double_buffered_kernelILb0ELi64ELi16ELi2E19rocblas_complex_numIdE24rocblas_internal_val_ptrIS1_EPKS1_PS1_EvbiiT4_lT5_lllS8_lllT6_lmli: ; @_ZL34rocblas_ger_double_buffered_kernelILb0ELi64ELi16ELi2E19rocblas_complex_numIdE24rocblas_internal_val_ptrIS1_EPKS1_PS1_EvbiiT4_lT5_lllS8_lllT6_lmli
; %bb.0:
	s_clause 0x1
	s_load_b32 s4, s[0:1], 0x0
	s_load_b64 s[2:3], s[0:1], 0x10
	s_mov_b32 s12, 0
	s_waitcnt lgkmcnt(0)
	s_bitcmp0_b32 s4, 0
	s_cbranch_scc0 .LBB21_2
; %bb.1:
	s_load_b64 s[4:5], s[0:1], 0x20
	s_waitcnt lgkmcnt(0)
	s_mul_i32 s5, s15, s5
	s_mul_hi_u32 s6, s15, s4
	s_mul_i32 s4, s15, s4
	s_add_i32 s5, s6, s5
	s_delay_alu instid0(SALU_CYCLE_1) | instskip(NEXT) | instid1(SALU_CYCLE_1)
	s_lshl_b64 s[4:5], s[4:5], 4
	s_add_u32 s4, s2, s4
	s_addc_u32 s5, s3, s5
	s_load_b128 s[24:27], s[4:5], 0x0
	s_and_not1_b32 vcc_lo, exec_lo, s12
	s_cbranch_vccz .LBB21_3
	s_branch .LBB21_4
.LBB21_2:
	s_mov_b32 s12, -1
                                        ; implicit-def: $sgpr26_sgpr27
.LBB21_3:
	s_waitcnt lgkmcnt(0)
	s_load_b64 s[26:27], s[0:1], 0x18
	s_mov_b32 s12, 0
	s_mov_b64 s[24:25], s[2:3]
.LBB21_4:
	s_waitcnt lgkmcnt(0)
	v_cmp_neq_f64_e64 s2, s[24:25], 0
	v_cmp_neq_f64_e64 s3, s[26:27], 0
	s_delay_alu instid0(VALU_DEP_1) | instskip(NEXT) | instid1(SALU_CYCLE_1)
	s_or_b32 s2, s2, s3
	s_and_not1_b32 vcc_lo, exec_lo, s2
	s_cbranch_vccnz .LBB21_6
; %bb.5:
	s_clause 0x4
	s_load_b64 s[30:31], s[0:1], 0x80
	s_load_b256 s[4:11], s[0:1], 0x60
	s_load_b256 s[16:23], s[0:1], 0x40
	s_load_b64 s[28:29], s[0:1], 0x28
	s_load_b128 s[0:3], s[0:1], 0x30
	v_and_b32_e32 v9, 0x3ff, v0
	v_bfe_u32 v0, v0, 10, 10
	s_delay_alu instid0(VALU_DEP_2) | instskip(NEXT) | instid1(VALU_DEP_1)
	v_and_b32_e32 v20, 31, v9
	v_or_b32_e32 v8, 32, v20
	s_waitcnt lgkmcnt(0)
	s_mul_i32 s31, s15, s31
	s_mul_hi_u32 s33, s15, s30
	s_mul_i32 s34, s12, s30
	s_add_i32 s31, s33, s31
	s_mul_i32 s30, s15, s30
	s_add_i32 s31, s31, s34
	s_mul_i32 s5, s15, s5
	s_lshl_b64 s[30:31], s[30:31], 4
	s_mul_hi_u32 s33, s15, s4
	s_add_u32 s30, s6, s30
	s_addc_u32 s31, s7, s31
	s_lshl_b64 s[6:7], s[8:9], 4
	s_mul_i32 s8, s12, s4
	s_add_u32 s9, s30, s6
	s_addc_u32 s30, s31, s7
	s_add_i32 s5, s33, s5
	s_mul_i32 s4, s15, s4
	s_add_i32 s5, s5, s8
	s_mul_i32 s6, s15, s17
	s_lshl_b64 s[4:5], s[4:5], 4
	s_mul_hi_u32 s7, s15, s16
	s_add_u32 s8, s18, s4
	s_addc_u32 s17, s19, s5
	s_lshl_b64 s[4:5], s[20:21], 4
	s_mul_i32 s12, s12, s16
	s_add_u32 s4, s8, s4
	s_addc_u32 s5, s17, s5
	s_add_i32 s7, s7, s6
	s_mul_i32 s6, s15, s16
	s_add_i32 s7, s7, s12
	v_mad_u64_u32 v[1:2], null, v20, s2, 0
	s_lshl_b64 s[6:7], s[6:7], 4
	v_mad_u64_u32 v[3:4], null, v8, s2, 0
	s_add_u32 s6, s28, s6
	s_addc_u32 s7, s29, s7
	s_lshl_b64 s[0:1], s[0:1], 4
	s_delay_alu instid0(SALU_CYCLE_1) | instskip(SKIP_2) | instid1(VALU_DEP_1)
	s_add_u32 s8, s6, s0
	s_addc_u32 s12, s7, s1
	s_lshl_b32 s0, s13, 6
	v_mad_u64_u32 v[5:6], null, v20, s3, v[2:3]
	s_ashr_i32 s1, s0, 31
	s_mul_hi_u32 s17, s0, s2
	s_lshl_b64 s[6:7], s[0:1], 4
	s_mul_i32 s1, s1, s2
	s_add_u32 s9, s9, s6
	s_addc_u32 s13, s30, s7
	s_delay_alu instid0(VALU_DEP_1)
	v_mov_b32_e32 v2, v5
	s_lshl_b32 s14, s14, 6
	v_mad_u64_u32 v[6:7], null, v8, s3, v[4:5]
	s_mul_i32 s6, s14, s11
	s_mul_hi_u32 s7, s14, s10
	s_ashr_i32 s15, s14, 31
	s_add_i32 s7, s7, s6
	s_mul_i32 s16, s15, s10
	s_mul_i32 s6, s14, s10
	s_add_i32 s7, s7, s16
	v_lshl_add_u32 v0, v0, 6, v9
	s_lshl_b64 s[6:7], s[6:7], 4
	s_mul_i32 s16, s0, s3
	s_add_u32 s6, s9, s6
	s_addc_u32 s7, s13, s7
	s_add_i32 s9, s17, s16
	v_lshrrev_b32_e32 v0, 4, v0
	v_mov_b32_e32 v4, v6
	s_add_i32 s1, s9, s1
	s_mul_i32 s0, s0, s2
	v_lshlrev_b64 v[1:2], 4, v[1:2]
	v_and_b32_e32 v21, 0x1ffe, v0
	s_lshl_b64 s[0:1], s[0:1], 4
	v_lshlrev_b64 v[3:4], 4, v[3:4]
	s_add_u32 s0, s8, s0
	s_addc_u32 s1, s12, s1
	v_add_co_u32 v1, vcc_lo, s0, v1
	v_add_co_ci_u32_e32 v2, vcc_lo, s1, v2, vcc_lo
	s_delay_alu instid0(VALU_DEP_3)
	v_add_co_u32 v5, vcc_lo, s0, v3
	v_add_co_ci_u32_e32 v6, vcc_lo, s1, v4, vcc_lo
	s_clause 0x1
	global_load_b128 v[1:4], v[1:2], off
	global_load_b128 v[5:8], v[5:6], off
	v_or_b32_e32 v15, 1, v0
	v_mad_u64_u32 v[9:10], null, v21, s22, 0
	s_mul_i32 s0, s14, s23
	s_mul_hi_u32 s1, s14, s22
	s_delay_alu instid0(VALU_DEP_2) | instskip(SKIP_2) | instid1(VALU_DEP_2)
	v_mad_u64_u32 v[11:12], null, v15, s22, 0
	s_mul_i32 s15, s15, s22
	s_add_i32 s1, s1, s0
	v_mov_b32_e32 v0, v10
	s_mul_i32 s0, s14, s22
	s_add_i32 s1, s1, s15
	s_lshl_b64 s[2:3], s[10:11], 4
	s_delay_alu instid0(VALU_DEP_2)
	v_mov_b32_e32 v10, v12
	s_lshl_b64 s[0:1], s[0:1], 4
	v_mad_u64_u32 v[17:18], null, v21, s10, 0
	s_add_u32 s0, s4, s0
	s_addc_u32 s1, s5, s1
	s_waitcnt vmcnt(1)
	v_mad_u64_u32 v[12:13], null, v21, s23, v[0:1]
	v_mad_u64_u32 v[13:14], null, v15, s23, v[10:11]
	s_delay_alu instid0(VALU_DEP_3)
	v_mov_b32_e32 v0, v18
	v_mul_f64 v[37:38], s[24:25], v[3:4]
	v_mul_f64 v[3:4], s[26:27], v[3:4]
	s_waitcnt vmcnt(0)
	v_mul_f64 v[39:40], s[24:25], v[7:8]
	v_mov_b32_e32 v10, v12
	v_mad_u64_u32 v[18:19], null, v21, s11, v[0:1]
	v_mov_b32_e32 v12, v13
	v_lshlrev_b32_e32 v0, 4, v20
	s_delay_alu instid0(VALU_DEP_4) | instskip(SKIP_1) | instid1(VALU_DEP_4)
	v_lshlrev_b64 v[9:10], 4, v[9:10]
	v_mul_f64 v[7:8], s[26:27], v[7:8]
	v_lshlrev_b64 v[11:12], 4, v[11:12]
	v_lshlrev_b64 v[17:18], 4, v[17:18]
	s_delay_alu instid0(VALU_DEP_4) | instskip(SKIP_1) | instid1(VALU_DEP_4)
	v_add_co_u32 v9, vcc_lo, s0, v9
	v_add_co_ci_u32_e32 v10, vcc_lo, s1, v10, vcc_lo
	v_add_co_u32 v13, vcc_lo, s0, v11
	v_add_co_ci_u32_e32 v14, vcc_lo, s1, v12, vcc_lo
	s_clause 0x1
	global_load_b128 v[9:12], v[9:10], off
	global_load_b128 v[13:16], v[13:14], off
	v_add_co_u32 v17, vcc_lo, s6, v17
	v_add_co_ci_u32_e32 v18, vcc_lo, s7, v18, vcc_lo
	s_delay_alu instid0(VALU_DEP_2) | instskip(NEXT) | instid1(VALU_DEP_2)
	v_add_co_u32 v33, vcc_lo, v17, v0
	v_add_co_ci_u32_e32 v34, vcc_lo, 0, v18, vcc_lo
	s_delay_alu instid0(VALU_DEP_2) | instskip(NEXT) | instid1(VALU_DEP_2)
	v_add_co_u32 v35, vcc_lo, v33, s2
	v_add_co_ci_u32_e32 v36, vcc_lo, s3, v34, vcc_lo
	global_load_b128 v[17:20], v[33:34], off
	s_clause 0x1
	global_load_b128 v[21:24], v[35:36], off
	global_load_b128 v[25:28], v[33:34], off offset:512
	global_load_b128 v[29:32], v[35:36], off offset:512
	v_fma_f64 v[37:38], s[26:27], v[1:2], v[37:38]
	v_fma_f64 v[0:1], s[24:25], v[1:2], -v[3:4]
	v_fma_f64 v[2:3], s[26:27], v[5:6], v[39:40]
	v_fma_f64 v[4:5], s[24:25], v[5:6], -v[7:8]
	s_waitcnt vmcnt(5)
	s_delay_alu instid0(VALU_DEP_4) | instskip(NEXT) | instid1(VALU_DEP_4)
	v_mul_f64 v[6:7], v[37:38], v[11:12]
	v_mul_f64 v[39:40], v[0:1], v[11:12]
	s_waitcnt vmcnt(4)
	v_mul_f64 v[41:42], v[37:38], v[15:16]
	v_mul_f64 v[43:44], v[0:1], v[15:16]
	;; [unrolled: 1-line block ×6, first 2 shown]
	v_fma_f64 v[6:7], v[0:1], v[9:10], -v[6:7]
	v_fma_f64 v[39:40], v[37:38], v[9:10], v[39:40]
	v_fma_f64 v[41:42], v[0:1], v[13:14], -v[41:42]
	v_fma_f64 v[37:38], v[37:38], v[13:14], v[43:44]
	;; [unrolled: 2-line block ×4, first 2 shown]
	s_waitcnt vmcnt(3)
	v_add_f64 v[0:1], v[17:18], v[6:7]
	v_add_f64 v[2:3], v[19:20], v[39:40]
	s_waitcnt vmcnt(2)
	v_add_f64 v[4:5], v[21:22], v[41:42]
	v_add_f64 v[6:7], v[23:24], v[37:38]
	;; [unrolled: 3-line block ×4, first 2 shown]
	global_store_b128 v[33:34], v[0:3], off
	s_clause 0x1
	global_store_b128 v[35:36], v[4:7], off
	global_store_b128 v[33:34], v[8:11], off offset:512
	global_store_b128 v[35:36], v[12:15], off offset:512
.LBB21_6:
	s_nop 0
	s_sendmsg sendmsg(MSG_DEALLOC_VGPRS)
	s_endpgm
	.section	.rodata,"a",@progbits
	.p2align	6, 0x0
	.amdhsa_kernel _ZL34rocblas_ger_double_buffered_kernelILb0ELi64ELi16ELi2E19rocblas_complex_numIdE24rocblas_internal_val_ptrIS1_EPKS1_PS1_EvbiiT4_lT5_lllS8_lllT6_lmli
		.amdhsa_group_segment_fixed_size 0
		.amdhsa_private_segment_fixed_size 0
		.amdhsa_kernarg_size 140
		.amdhsa_user_sgpr_count 13
		.amdhsa_user_sgpr_dispatch_ptr 0
		.amdhsa_user_sgpr_queue_ptr 0
		.amdhsa_user_sgpr_kernarg_segment_ptr 1
		.amdhsa_user_sgpr_dispatch_id 0
		.amdhsa_user_sgpr_private_segment_size 0
		.amdhsa_wavefront_size32 1
		.amdhsa_uses_dynamic_stack 0
		.amdhsa_enable_private_segment 0
		.amdhsa_system_sgpr_workgroup_id_x 1
		.amdhsa_system_sgpr_workgroup_id_y 1
		.amdhsa_system_sgpr_workgroup_id_z 1
		.amdhsa_system_sgpr_workgroup_info 0
		.amdhsa_system_vgpr_workitem_id 1
		.amdhsa_next_free_vgpr 49
		.amdhsa_next_free_sgpr 35
		.amdhsa_reserve_vcc 1
		.amdhsa_float_round_mode_32 0
		.amdhsa_float_round_mode_16_64 0
		.amdhsa_float_denorm_mode_32 3
		.amdhsa_float_denorm_mode_16_64 3
		.amdhsa_dx10_clamp 1
		.amdhsa_ieee_mode 1
		.amdhsa_fp16_overflow 0
		.amdhsa_workgroup_processor_mode 1
		.amdhsa_memory_ordered 1
		.amdhsa_forward_progress 0
		.amdhsa_shared_vgpr_count 0
		.amdhsa_exception_fp_ieee_invalid_op 0
		.amdhsa_exception_fp_denorm_src 0
		.amdhsa_exception_fp_ieee_div_zero 0
		.amdhsa_exception_fp_ieee_overflow 0
		.amdhsa_exception_fp_ieee_underflow 0
		.amdhsa_exception_fp_ieee_inexact 0
		.amdhsa_exception_int_div_zero 0
	.end_amdhsa_kernel
	.section	.text._ZL34rocblas_ger_double_buffered_kernelILb0ELi64ELi16ELi2E19rocblas_complex_numIdE24rocblas_internal_val_ptrIS1_EPKS1_PS1_EvbiiT4_lT5_lllS8_lllT6_lmli,"axG",@progbits,_ZL34rocblas_ger_double_buffered_kernelILb0ELi64ELi16ELi2E19rocblas_complex_numIdE24rocblas_internal_val_ptrIS1_EPKS1_PS1_EvbiiT4_lT5_lllS8_lllT6_lmli,comdat
.Lfunc_end21:
	.size	_ZL34rocblas_ger_double_buffered_kernelILb0ELi64ELi16ELi2E19rocblas_complex_numIdE24rocblas_internal_val_ptrIS1_EPKS1_PS1_EvbiiT4_lT5_lllS8_lllT6_lmli, .Lfunc_end21-_ZL34rocblas_ger_double_buffered_kernelILb0ELi64ELi16ELi2E19rocblas_complex_numIdE24rocblas_internal_val_ptrIS1_EPKS1_PS1_EvbiiT4_lT5_lllS8_lllT6_lmli
                                        ; -- End function
	.section	.AMDGPU.csdata,"",@progbits
; Kernel info:
; codeLenInByte = 1236
; NumSgprs: 37
; NumVgprs: 49
; ScratchSize: 0
; MemoryBound: 0
; FloatMode: 240
; IeeeMode: 1
; LDSByteSize: 0 bytes/workgroup (compile time only)
; SGPRBlocks: 4
; VGPRBlocks: 6
; NumSGPRsForWavesPerEU: 37
; NumVGPRsForWavesPerEU: 49
; Occupancy: 16
; WaveLimiterHint : 0
; COMPUTE_PGM_RSRC2:SCRATCH_EN: 0
; COMPUTE_PGM_RSRC2:USER_SGPR: 13
; COMPUTE_PGM_RSRC2:TRAP_HANDLER: 0
; COMPUTE_PGM_RSRC2:TGID_X_EN: 1
; COMPUTE_PGM_RSRC2:TGID_Y_EN: 1
; COMPUTE_PGM_RSRC2:TGID_Z_EN: 1
; COMPUTE_PGM_RSRC2:TIDIG_COMP_CNT: 1
	.section	.text._ZL26rocblas_sger_gfx942_kernelILi256E19rocblas_complex_numIdEPKS1_S3_PS1_EviiT1_lT2_lllS6_lllT3_lll,"axG",@progbits,_ZL26rocblas_sger_gfx942_kernelILi256E19rocblas_complex_numIdEPKS1_S3_PS1_EviiT1_lT2_lllS6_lllT3_lll,comdat
	.globl	_ZL26rocblas_sger_gfx942_kernelILi256E19rocblas_complex_numIdEPKS1_S3_PS1_EviiT1_lT2_lllS6_lllT3_lll ; -- Begin function _ZL26rocblas_sger_gfx942_kernelILi256E19rocblas_complex_numIdEPKS1_S3_PS1_EviiT1_lT2_lllS6_lllT3_lll
	.p2align	8
	.type	_ZL26rocblas_sger_gfx942_kernelILi256E19rocblas_complex_numIdEPKS1_S3_PS1_EviiT1_lT2_lllS6_lllT3_lll,@function
_ZL26rocblas_sger_gfx942_kernelILi256E19rocblas_complex_numIdEPKS1_S3_PS1_EviiT1_lT2_lllS6_lllT3_lll: ; @_ZL26rocblas_sger_gfx942_kernelILi256E19rocblas_complex_numIdEPKS1_S3_PS1_EviiT1_lT2_lllS6_lllT3_lll
; %bb.0:
	s_endpgm
	.section	.rodata,"a",@progbits
	.p2align	6, 0x0
	.amdhsa_kernel _ZL26rocblas_sger_gfx942_kernelILi256E19rocblas_complex_numIdEPKS1_S3_PS1_EviiT1_lT2_lllS6_lllT3_lll
		.amdhsa_group_segment_fixed_size 0
		.amdhsa_private_segment_fixed_size 0
		.amdhsa_kernarg_size 120
		.amdhsa_user_sgpr_count 15
		.amdhsa_user_sgpr_dispatch_ptr 0
		.amdhsa_user_sgpr_queue_ptr 0
		.amdhsa_user_sgpr_kernarg_segment_ptr 1
		.amdhsa_user_sgpr_dispatch_id 0
		.amdhsa_user_sgpr_private_segment_size 0
		.amdhsa_wavefront_size32 1
		.amdhsa_uses_dynamic_stack 0
		.amdhsa_enable_private_segment 0
		.amdhsa_system_sgpr_workgroup_id_x 1
		.amdhsa_system_sgpr_workgroup_id_y 0
		.amdhsa_system_sgpr_workgroup_id_z 0
		.amdhsa_system_sgpr_workgroup_info 0
		.amdhsa_system_vgpr_workitem_id 0
		.amdhsa_next_free_vgpr 1
		.amdhsa_next_free_sgpr 1
		.amdhsa_reserve_vcc 0
		.amdhsa_float_round_mode_32 0
		.amdhsa_float_round_mode_16_64 0
		.amdhsa_float_denorm_mode_32 3
		.amdhsa_float_denorm_mode_16_64 3
		.amdhsa_dx10_clamp 1
		.amdhsa_ieee_mode 1
		.amdhsa_fp16_overflow 0
		.amdhsa_workgroup_processor_mode 1
		.amdhsa_memory_ordered 1
		.amdhsa_forward_progress 0
		.amdhsa_shared_vgpr_count 0
		.amdhsa_exception_fp_ieee_invalid_op 0
		.amdhsa_exception_fp_denorm_src 0
		.amdhsa_exception_fp_ieee_div_zero 0
		.amdhsa_exception_fp_ieee_overflow 0
		.amdhsa_exception_fp_ieee_underflow 0
		.amdhsa_exception_fp_ieee_inexact 0
		.amdhsa_exception_int_div_zero 0
	.end_amdhsa_kernel
	.section	.text._ZL26rocblas_sger_gfx942_kernelILi256E19rocblas_complex_numIdEPKS1_S3_PS1_EviiT1_lT2_lllS6_lllT3_lll,"axG",@progbits,_ZL26rocblas_sger_gfx942_kernelILi256E19rocblas_complex_numIdEPKS1_S3_PS1_EviiT1_lT2_lllS6_lllT3_lll,comdat
.Lfunc_end22:
	.size	_ZL26rocblas_sger_gfx942_kernelILi256E19rocblas_complex_numIdEPKS1_S3_PS1_EviiT1_lT2_lllS6_lllT3_lll, .Lfunc_end22-_ZL26rocblas_sger_gfx942_kernelILi256E19rocblas_complex_numIdEPKS1_S3_PS1_EviiT1_lT2_lllS6_lllT3_lll
                                        ; -- End function
	.section	.AMDGPU.csdata,"",@progbits
; Kernel info:
; codeLenInByte = 4
; NumSgprs: 0
; NumVgprs: 0
; ScratchSize: 0
; MemoryBound: 0
; FloatMode: 240
; IeeeMode: 1
; LDSByteSize: 0 bytes/workgroup (compile time only)
; SGPRBlocks: 0
; VGPRBlocks: 0
; NumSGPRsForWavesPerEU: 1
; NumVGPRsForWavesPerEU: 1
; Occupancy: 16
; WaveLimiterHint : 0
; COMPUTE_PGM_RSRC2:SCRATCH_EN: 0
; COMPUTE_PGM_RSRC2:USER_SGPR: 15
; COMPUTE_PGM_RSRC2:TRAP_HANDLER: 0
; COMPUTE_PGM_RSRC2:TGID_X_EN: 1
; COMPUTE_PGM_RSRC2:TGID_Y_EN: 0
; COMPUTE_PGM_RSRC2:TGID_Z_EN: 0
; COMPUTE_PGM_RSRC2:TIDIG_COMP_CNT: 0
	.section	.text._ZL26rocblas_sger_gfx942_kernelILi256E19rocblas_complex_numIdES1_PKS1_PS1_EviiT1_lT2_lllS6_lllT3_lll,"axG",@progbits,_ZL26rocblas_sger_gfx942_kernelILi256E19rocblas_complex_numIdES1_PKS1_PS1_EviiT1_lT2_lllS6_lllT3_lll,comdat
	.globl	_ZL26rocblas_sger_gfx942_kernelILi256E19rocblas_complex_numIdES1_PKS1_PS1_EviiT1_lT2_lllS6_lllT3_lll ; -- Begin function _ZL26rocblas_sger_gfx942_kernelILi256E19rocblas_complex_numIdES1_PKS1_PS1_EviiT1_lT2_lllS6_lllT3_lll
	.p2align	8
	.type	_ZL26rocblas_sger_gfx942_kernelILi256E19rocblas_complex_numIdES1_PKS1_PS1_EviiT1_lT2_lllS6_lllT3_lll,@function
_ZL26rocblas_sger_gfx942_kernelILi256E19rocblas_complex_numIdES1_PKS1_PS1_EviiT1_lT2_lllS6_lllT3_lll: ; @_ZL26rocblas_sger_gfx942_kernelILi256E19rocblas_complex_numIdES1_PKS1_PS1_EviiT1_lT2_lllS6_lllT3_lll
; %bb.0:
	s_endpgm
	.section	.rodata,"a",@progbits
	.p2align	6, 0x0
	.amdhsa_kernel _ZL26rocblas_sger_gfx942_kernelILi256E19rocblas_complex_numIdES1_PKS1_PS1_EviiT1_lT2_lllS6_lllT3_lll
		.amdhsa_group_segment_fixed_size 0
		.amdhsa_private_segment_fixed_size 0
		.amdhsa_kernarg_size 128
		.amdhsa_user_sgpr_count 15
		.amdhsa_user_sgpr_dispatch_ptr 0
		.amdhsa_user_sgpr_queue_ptr 0
		.amdhsa_user_sgpr_kernarg_segment_ptr 1
		.amdhsa_user_sgpr_dispatch_id 0
		.amdhsa_user_sgpr_private_segment_size 0
		.amdhsa_wavefront_size32 1
		.amdhsa_uses_dynamic_stack 0
		.amdhsa_enable_private_segment 0
		.amdhsa_system_sgpr_workgroup_id_x 1
		.amdhsa_system_sgpr_workgroup_id_y 0
		.amdhsa_system_sgpr_workgroup_id_z 0
		.amdhsa_system_sgpr_workgroup_info 0
		.amdhsa_system_vgpr_workitem_id 0
		.amdhsa_next_free_vgpr 1
		.amdhsa_next_free_sgpr 1
		.amdhsa_reserve_vcc 0
		.amdhsa_float_round_mode_32 0
		.amdhsa_float_round_mode_16_64 0
		.amdhsa_float_denorm_mode_32 3
		.amdhsa_float_denorm_mode_16_64 3
		.amdhsa_dx10_clamp 1
		.amdhsa_ieee_mode 1
		.amdhsa_fp16_overflow 0
		.amdhsa_workgroup_processor_mode 1
		.amdhsa_memory_ordered 1
		.amdhsa_forward_progress 0
		.amdhsa_shared_vgpr_count 0
		.amdhsa_exception_fp_ieee_invalid_op 0
		.amdhsa_exception_fp_denorm_src 0
		.amdhsa_exception_fp_ieee_div_zero 0
		.amdhsa_exception_fp_ieee_overflow 0
		.amdhsa_exception_fp_ieee_underflow 0
		.amdhsa_exception_fp_ieee_inexact 0
		.amdhsa_exception_int_div_zero 0
	.end_amdhsa_kernel
	.section	.text._ZL26rocblas_sger_gfx942_kernelILi256E19rocblas_complex_numIdES1_PKS1_PS1_EviiT1_lT2_lllS6_lllT3_lll,"axG",@progbits,_ZL26rocblas_sger_gfx942_kernelILi256E19rocblas_complex_numIdES1_PKS1_PS1_EviiT1_lT2_lllS6_lllT3_lll,comdat
.Lfunc_end23:
	.size	_ZL26rocblas_sger_gfx942_kernelILi256E19rocblas_complex_numIdES1_PKS1_PS1_EviiT1_lT2_lllS6_lllT3_lll, .Lfunc_end23-_ZL26rocblas_sger_gfx942_kernelILi256E19rocblas_complex_numIdES1_PKS1_PS1_EviiT1_lT2_lllS6_lllT3_lll
                                        ; -- End function
	.section	.AMDGPU.csdata,"",@progbits
; Kernel info:
; codeLenInByte = 4
; NumSgprs: 0
; NumVgprs: 0
; ScratchSize: 0
; MemoryBound: 0
; FloatMode: 240
; IeeeMode: 1
; LDSByteSize: 0 bytes/workgroup (compile time only)
; SGPRBlocks: 0
; VGPRBlocks: 0
; NumSGPRsForWavesPerEU: 1
; NumVGPRsForWavesPerEU: 1
; Occupancy: 16
; WaveLimiterHint : 0
; COMPUTE_PGM_RSRC2:SCRATCH_EN: 0
; COMPUTE_PGM_RSRC2:USER_SGPR: 15
; COMPUTE_PGM_RSRC2:TRAP_HANDLER: 0
; COMPUTE_PGM_RSRC2:TGID_X_EN: 1
; COMPUTE_PGM_RSRC2:TGID_Y_EN: 0
; COMPUTE_PGM_RSRC2:TGID_Z_EN: 0
; COMPUTE_PGM_RSRC2:TIDIG_COMP_CNT: 0
	.section	.text._ZL19rocblas_sger_kernelILi1024E19rocblas_complex_numIdEPKS1_S3_PS1_EviiT1_lT2_lllS6_lllT3_lmli,"axG",@progbits,_ZL19rocblas_sger_kernelILi1024E19rocblas_complex_numIdEPKS1_S3_PS1_EviiT1_lT2_lllS6_lllT3_lmli,comdat
	.globl	_ZL19rocblas_sger_kernelILi1024E19rocblas_complex_numIdEPKS1_S3_PS1_EviiT1_lT2_lllS6_lllT3_lmli ; -- Begin function _ZL19rocblas_sger_kernelILi1024E19rocblas_complex_numIdEPKS1_S3_PS1_EviiT1_lT2_lllS6_lllT3_lmli
	.p2align	8
	.type	_ZL19rocblas_sger_kernelILi1024E19rocblas_complex_numIdEPKS1_S3_PS1_EviiT1_lT2_lllS6_lllT3_lmli,@function
_ZL19rocblas_sger_kernelILi1024E19rocblas_complex_numIdEPKS1_S3_PS1_EviiT1_lT2_lllS6_lllT3_lmli: ; @_ZL19rocblas_sger_kernelILi1024E19rocblas_complex_numIdEPKS1_S3_PS1_EviiT1_lT2_lllS6_lllT3_lmli
; %bb.0:
	s_load_b128 s[4:7], s[0:1], 0x8
	s_waitcnt lgkmcnt(0)
	s_mul_i32 s3, s15, s7
	s_mul_hi_u32 s7, s15, s6
	s_mul_i32 s2, s15, s6
	s_add_i32 s3, s7, s3
	s_delay_alu instid0(SALU_CYCLE_1) | instskip(NEXT) | instid1(SALU_CYCLE_1)
	s_lshl_b64 s[2:3], s[2:3], 4
	s_add_u32 s2, s4, s2
	s_addc_u32 s3, s5, s3
	s_load_b128 s[24:27], s[2:3], 0x0
	s_waitcnt lgkmcnt(0)
	v_cmp_neq_f64_e64 s2, s[24:25], 0
	v_cmp_neq_f64_e64 s3, s[26:27], 0
	s_delay_alu instid0(VALU_DEP_1) | instskip(NEXT) | instid1(SALU_CYCLE_1)
	s_or_b32 s2, s2, s3
	s_and_not1_b32 vcc_lo, exec_lo, s2
	s_cbranch_vccnz .LBB24_4
; %bb.1:
	s_load_b32 s12, s[0:1], 0x0
	s_waitcnt lgkmcnt(0)
	v_cmp_gt_i32_e32 vcc_lo, s12, v0
	s_and_saveexec_b32 s2, vcc_lo
	s_cbranch_execz .LBB24_4
; %bb.2:
	s_clause 0x1
	s_load_b256 s[4:11], s[0:1], 0x50
	s_load_b256 s[16:23], s[0:1], 0x30
	s_waitcnt lgkmcnt(0)
	s_mul_i32 s3, s15, s5
	s_mul_hi_u32 s5, s15, s4
	s_mul_i32 s2, s15, s4
	s_add_i32 s3, s5, s3
	s_mul_i32 s4, s14, s23
	s_lshl_b64 s[2:3], s[2:3], 4
	s_mul_i32 s11, s11, s14
	s_add_u32 s5, s18, s2
	s_addc_u32 s13, s19, s3
	s_lshl_b64 s[2:3], s[20:21], 4
	s_mul_hi_u32 s18, s14, s22
	s_add_u32 s5, s5, s2
	s_addc_u32 s13, s13, s3
	s_ashr_i32 s19, s14, 31
	s_add_i32 s3, s18, s4
	s_mul_i32 s4, s19, s22
	s_mul_i32 s2, s14, s22
	s_add_i32 s3, s3, s4
	s_mul_i32 s4, s10, s14
	s_lshl_b64 s[2:3], s[2:3], 4
	s_delay_alu instid0(SALU_CYCLE_1)
	s_add_u32 s2, s5, s2
	s_addc_u32 s3, s13, s3
	s_mul_hi_u32 s5, s10, s14
	s_load_b128 s[28:31], s[2:3], 0x0
	s_clause 0x2
	s_load_b64 s[2:3], s[0:1], 0x70
	s_load_b128 s[20:23], s[0:1], 0x20
	s_load_b64 s[0:1], s[0:1], 0x18
	s_mul_i32 s10, s10, s19
	s_delay_alu instid0(SALU_CYCLE_1) | instskip(NEXT) | instid1(SALU_CYCLE_1)
	s_add_i32 s5, s5, s10
	s_add_i32 s5, s5, s11
	s_delay_alu instid0(SALU_CYCLE_1)
	s_lshl_b64 s[4:5], s[4:5], 4
	s_waitcnt lgkmcnt(0)
	s_mul_i32 s3, s3, s15
	v_mul_f64 v[1:2], s[26:27], s[30:31]
	v_mul_f64 v[3:4], s[24:25], s[30:31]
	v_mad_u64_u32 v[5:6], null, s22, v0, 0
	s_mul_hi_u32 s13, s2, s15
	s_mul_i32 s2, s2, s15
	s_add_i32 s3, s13, s3
	s_delay_alu instid0(SALU_CYCLE_1) | instskip(NEXT) | instid1(VALU_DEP_1)
	s_lshl_b64 s[2:3], s[2:3], 4
	v_mad_u64_u32 v[7:8], null, s23, v0, v[6:7]
	v_cndmask_b32_e32 v9, 0, v0, vcc_lo
	s_add_u32 s4, s4, s2
	s_addc_u32 s5, s5, s3
	s_lshl_b64 s[2:3], s[8:9], 4
	s_delay_alu instid0(SALU_CYCLE_1) | instskip(NEXT) | instid1(VALU_DEP_2)
	s_add_u32 s2, s4, s2
	v_mov_b32_e32 v6, v7
	v_lshlrev_b32_e32 v8, 4, v9
	s_addc_u32 s3, s5, s3
	s_add_u32 s4, s6, s2
	s_mul_i32 s2, s17, s15
	s_mul_hi_u32 s5, s16, s15
	s_addc_u32 s6, s7, s3
	v_add_co_u32 v7, s4, s4, v8
	s_add_i32 s3, s5, s2
	s_mul_i32 s2, s16, s15
	v_add_co_ci_u32_e64 v8, null, s6, 0, s4
	s_lshl_b64 s[4:5], s[20:21], 4
	v_lshlrev_b64 v[5:6], 4, v[5:6]
	s_lshl_b64 s[2:3], s[2:3], 4
	s_add_u32 s0, s0, s4
	s_addc_u32 s1, s1, s5
	s_add_u32 s0, s0, s2
	s_addc_u32 s1, s1, s3
	v_fma_f64 v[1:2], s[24:25], s[28:29], -v[1:2]
	v_fma_f64 v[3:4], s[26:27], s[28:29], v[3:4]
	v_add_co_u32 v9, vcc_lo, s0, v5
	v_add_co_ci_u32_e32 v10, vcc_lo, s1, v6, vcc_lo
	v_add_co_u32 v5, vcc_lo, v7, 8
	v_add_co_ci_u32_e32 v6, vcc_lo, 0, v8, vcc_lo
	s_delay_alu instid0(VALU_DEP_4) | instskip(NEXT) | instid1(VALU_DEP_4)
	v_add_co_u32 v7, vcc_lo, v9, 8
	v_add_co_ci_u32_e32 v8, vcc_lo, 0, v10, vcc_lo
	s_mov_b32 s1, 0
	s_lshl_b64 s[2:3], s[22:23], 14
	.p2align	6
.LBB24_3:                               ; =>This Inner Loop Header: Depth=1
	global_load_b128 v[9:12], v[7:8], off offset:-8
	global_load_b128 v[13:16], v[5:6], off offset:-8
	v_add_nc_u32_e32 v0, 0x400, v0
	v_add_co_u32 v7, vcc_lo, v7, s2
	v_add_co_ci_u32_e32 v8, vcc_lo, s3, v8, vcc_lo
	s_delay_alu instid0(VALU_DEP_3) | instskip(SKIP_4) | instid1(VALU_DEP_2)
	v_cmp_le_i32_e32 vcc_lo, s12, v0
	s_or_b32 s1, vcc_lo, s1
	s_waitcnt vmcnt(1)
	v_mul_f64 v[17:18], v[3:4], v[11:12]
	v_mul_f64 v[11:12], v[1:2], v[11:12]
	v_fma_f64 v[17:18], v[1:2], v[9:10], -v[17:18]
	s_delay_alu instid0(VALU_DEP_2) | instskip(SKIP_1) | instid1(VALU_DEP_2)
	v_fma_f64 v[11:12], v[3:4], v[9:10], v[11:12]
	s_waitcnt vmcnt(0)
	v_add_f64 v[9:10], v[13:14], v[17:18]
	s_delay_alu instid0(VALU_DEP_2) | instskip(SKIP_2) | instid1(VALU_DEP_1)
	v_add_f64 v[11:12], v[15:16], v[11:12]
	global_store_b128 v[5:6], v[9:12], off offset:-8
	v_add_co_u32 v5, s0, 0x4000, v5
	v_add_co_ci_u32_e64 v6, s0, 0, v6, s0
	s_and_not1_b32 exec_lo, exec_lo, s1
	s_cbranch_execnz .LBB24_3
.LBB24_4:
	s_nop 0
	s_sendmsg sendmsg(MSG_DEALLOC_VGPRS)
	s_endpgm
	.section	.rodata,"a",@progbits
	.p2align	6, 0x0
	.amdhsa_kernel _ZL19rocblas_sger_kernelILi1024E19rocblas_complex_numIdEPKS1_S3_PS1_EviiT1_lT2_lllS6_lllT3_lmli
		.amdhsa_group_segment_fixed_size 0
		.amdhsa_private_segment_fixed_size 0
		.amdhsa_kernarg_size 124
		.amdhsa_user_sgpr_count 14
		.amdhsa_user_sgpr_dispatch_ptr 0
		.amdhsa_user_sgpr_queue_ptr 0
		.amdhsa_user_sgpr_kernarg_segment_ptr 1
		.amdhsa_user_sgpr_dispatch_id 0
		.amdhsa_user_sgpr_private_segment_size 0
		.amdhsa_wavefront_size32 1
		.amdhsa_uses_dynamic_stack 0
		.amdhsa_enable_private_segment 0
		.amdhsa_system_sgpr_workgroup_id_x 1
		.amdhsa_system_sgpr_workgroup_id_y 0
		.amdhsa_system_sgpr_workgroup_id_z 1
		.amdhsa_system_sgpr_workgroup_info 0
		.amdhsa_system_vgpr_workitem_id 0
		.amdhsa_next_free_vgpr 19
		.amdhsa_next_free_sgpr 32
		.amdhsa_reserve_vcc 1
		.amdhsa_float_round_mode_32 0
		.amdhsa_float_round_mode_16_64 0
		.amdhsa_float_denorm_mode_32 3
		.amdhsa_float_denorm_mode_16_64 3
		.amdhsa_dx10_clamp 1
		.amdhsa_ieee_mode 1
		.amdhsa_fp16_overflow 0
		.amdhsa_workgroup_processor_mode 1
		.amdhsa_memory_ordered 1
		.amdhsa_forward_progress 0
		.amdhsa_shared_vgpr_count 0
		.amdhsa_exception_fp_ieee_invalid_op 0
		.amdhsa_exception_fp_denorm_src 0
		.amdhsa_exception_fp_ieee_div_zero 0
		.amdhsa_exception_fp_ieee_overflow 0
		.amdhsa_exception_fp_ieee_underflow 0
		.amdhsa_exception_fp_ieee_inexact 0
		.amdhsa_exception_int_div_zero 0
	.end_amdhsa_kernel
	.section	.text._ZL19rocblas_sger_kernelILi1024E19rocblas_complex_numIdEPKS1_S3_PS1_EviiT1_lT2_lllS6_lllT3_lmli,"axG",@progbits,_ZL19rocblas_sger_kernelILi1024E19rocblas_complex_numIdEPKS1_S3_PS1_EviiT1_lT2_lllS6_lllT3_lmli,comdat
.Lfunc_end24:
	.size	_ZL19rocblas_sger_kernelILi1024E19rocblas_complex_numIdEPKS1_S3_PS1_EviiT1_lT2_lllS6_lllT3_lmli, .Lfunc_end24-_ZL19rocblas_sger_kernelILi1024E19rocblas_complex_numIdEPKS1_S3_PS1_EviiT1_lT2_lllS6_lllT3_lmli
                                        ; -- End function
	.section	.AMDGPU.csdata,"",@progbits
; Kernel info:
; codeLenInByte = 684
; NumSgprs: 34
; NumVgprs: 19
; ScratchSize: 0
; MemoryBound: 0
; FloatMode: 240
; IeeeMode: 1
; LDSByteSize: 0 bytes/workgroup (compile time only)
; SGPRBlocks: 4
; VGPRBlocks: 2
; NumSGPRsForWavesPerEU: 34
; NumVGPRsForWavesPerEU: 19
; Occupancy: 16
; WaveLimiterHint : 0
; COMPUTE_PGM_RSRC2:SCRATCH_EN: 0
; COMPUTE_PGM_RSRC2:USER_SGPR: 14
; COMPUTE_PGM_RSRC2:TRAP_HANDLER: 0
; COMPUTE_PGM_RSRC2:TGID_X_EN: 1
; COMPUTE_PGM_RSRC2:TGID_Y_EN: 0
; COMPUTE_PGM_RSRC2:TGID_Z_EN: 1
; COMPUTE_PGM_RSRC2:TIDIG_COMP_CNT: 0
	.section	.text._ZL19rocblas_sger_kernelILi1024E19rocblas_complex_numIdES1_PKS1_PS1_EviiT1_lT2_lllS6_lllT3_lmli,"axG",@progbits,_ZL19rocblas_sger_kernelILi1024E19rocblas_complex_numIdES1_PKS1_PS1_EviiT1_lT2_lllS6_lllT3_lmli,comdat
	.globl	_ZL19rocblas_sger_kernelILi1024E19rocblas_complex_numIdES1_PKS1_PS1_EviiT1_lT2_lllS6_lllT3_lmli ; -- Begin function _ZL19rocblas_sger_kernelILi1024E19rocblas_complex_numIdES1_PKS1_PS1_EviiT1_lT2_lllS6_lllT3_lmli
	.p2align	8
	.type	_ZL19rocblas_sger_kernelILi1024E19rocblas_complex_numIdES1_PKS1_PS1_EviiT1_lT2_lllS6_lllT3_lmli,@function
_ZL19rocblas_sger_kernelILi1024E19rocblas_complex_numIdES1_PKS1_PS1_EviiT1_lT2_lllS6_lllT3_lmli: ; @_ZL19rocblas_sger_kernelILi1024E19rocblas_complex_numIdES1_PKS1_PS1_EviiT1_lT2_lllS6_lllT3_lmli
; %bb.0:
	s_load_b128 s[24:27], s[0:1], 0x8
	s_waitcnt lgkmcnt(0)
	v_cmp_neq_f64_e64 s2, s[24:25], 0
	v_cmp_neq_f64_e64 s3, s[26:27], 0
	s_delay_alu instid0(VALU_DEP_1) | instskip(NEXT) | instid1(SALU_CYCLE_1)
	s_or_b32 s2, s2, s3
	s_and_not1_b32 vcc_lo, exec_lo, s2
	s_cbranch_vccnz .LBB25_4
; %bb.1:
	s_load_b32 s12, s[0:1], 0x0
	s_waitcnt lgkmcnt(0)
	v_cmp_gt_i32_e32 vcc_lo, s12, v0
	s_and_saveexec_b32 s2, vcc_lo
	s_cbranch_execz .LBB25_4
; %bb.2:
	s_clause 0x1
	s_load_b256 s[4:11], s[0:1], 0x58
	s_load_b256 s[16:23], s[0:1], 0x38
	s_waitcnt lgkmcnt(0)
	s_mul_i32 s3, s15, s5
	s_mul_hi_u32 s5, s15, s4
	s_mul_i32 s2, s15, s4
	s_add_i32 s3, s5, s3
	s_mul_i32 s4, s14, s23
	s_lshl_b64 s[2:3], s[2:3], 4
	s_mul_i32 s11, s11, s14
	s_add_u32 s5, s18, s2
	s_addc_u32 s13, s19, s3
	s_lshl_b64 s[2:3], s[20:21], 4
	s_mul_hi_u32 s18, s14, s22
	s_add_u32 s5, s5, s2
	s_addc_u32 s13, s13, s3
	s_ashr_i32 s19, s14, 31
	s_add_i32 s3, s18, s4
	s_mul_i32 s4, s19, s22
	s_mul_i32 s2, s14, s22
	s_add_i32 s3, s3, s4
	s_mul_i32 s4, s10, s14
	s_lshl_b64 s[2:3], s[2:3], 4
	s_delay_alu instid0(SALU_CYCLE_1)
	s_add_u32 s2, s5, s2
	s_addc_u32 s3, s13, s3
	s_mul_hi_u32 s5, s10, s14
	s_load_b128 s[28:31], s[2:3], 0x0
	s_clause 0x2
	s_load_b64 s[2:3], s[0:1], 0x78
	s_load_b128 s[20:23], s[0:1], 0x28
	s_load_b64 s[0:1], s[0:1], 0x20
	s_mul_i32 s10, s10, s19
	s_delay_alu instid0(SALU_CYCLE_1) | instskip(NEXT) | instid1(SALU_CYCLE_1)
	s_add_i32 s5, s5, s10
	s_add_i32 s5, s5, s11
	s_delay_alu instid0(SALU_CYCLE_1)
	s_lshl_b64 s[4:5], s[4:5], 4
	s_waitcnt lgkmcnt(0)
	s_mul_i32 s3, s3, s15
	v_mul_f64 v[1:2], s[26:27], s[30:31]
	v_mul_f64 v[3:4], s[24:25], s[30:31]
	v_mad_u64_u32 v[5:6], null, s22, v0, 0
	s_mul_hi_u32 s13, s2, s15
	s_mul_i32 s2, s2, s15
	s_add_i32 s3, s13, s3
	s_delay_alu instid0(SALU_CYCLE_1) | instskip(NEXT) | instid1(VALU_DEP_1)
	s_lshl_b64 s[2:3], s[2:3], 4
	v_mad_u64_u32 v[7:8], null, s23, v0, v[6:7]
	v_cndmask_b32_e32 v9, 0, v0, vcc_lo
	s_add_u32 s4, s4, s2
	s_addc_u32 s5, s5, s3
	s_lshl_b64 s[2:3], s[8:9], 4
	s_delay_alu instid0(SALU_CYCLE_1) | instskip(NEXT) | instid1(VALU_DEP_2)
	s_add_u32 s2, s4, s2
	v_mov_b32_e32 v6, v7
	v_lshlrev_b32_e32 v8, 4, v9
	s_addc_u32 s3, s5, s3
	s_add_u32 s4, s6, s2
	s_mul_i32 s2, s17, s15
	s_mul_hi_u32 s5, s16, s15
	s_addc_u32 s6, s7, s3
	v_add_co_u32 v7, s4, s4, v8
	s_add_i32 s3, s5, s2
	s_mul_i32 s2, s16, s15
	v_add_co_ci_u32_e64 v8, null, s6, 0, s4
	s_lshl_b64 s[4:5], s[20:21], 4
	v_lshlrev_b64 v[5:6], 4, v[5:6]
	s_lshl_b64 s[2:3], s[2:3], 4
	s_add_u32 s0, s0, s4
	s_addc_u32 s1, s1, s5
	s_add_u32 s0, s0, s2
	s_addc_u32 s1, s1, s3
	v_fma_f64 v[1:2], s[24:25], s[28:29], -v[1:2]
	v_fma_f64 v[3:4], s[26:27], s[28:29], v[3:4]
	v_add_co_u32 v9, vcc_lo, s0, v5
	v_add_co_ci_u32_e32 v10, vcc_lo, s1, v6, vcc_lo
	v_add_co_u32 v5, vcc_lo, v7, 8
	v_add_co_ci_u32_e32 v6, vcc_lo, 0, v8, vcc_lo
	s_delay_alu instid0(VALU_DEP_4) | instskip(NEXT) | instid1(VALU_DEP_4)
	v_add_co_u32 v7, vcc_lo, v9, 8
	v_add_co_ci_u32_e32 v8, vcc_lo, 0, v10, vcc_lo
	s_mov_b32 s1, 0
	s_lshl_b64 s[2:3], s[22:23], 14
	.p2align	6
.LBB25_3:                               ; =>This Inner Loop Header: Depth=1
	global_load_b128 v[9:12], v[7:8], off offset:-8
	global_load_b128 v[13:16], v[5:6], off offset:-8
	v_add_nc_u32_e32 v0, 0x400, v0
	v_add_co_u32 v7, vcc_lo, v7, s2
	v_add_co_ci_u32_e32 v8, vcc_lo, s3, v8, vcc_lo
	s_delay_alu instid0(VALU_DEP_3) | instskip(SKIP_4) | instid1(VALU_DEP_2)
	v_cmp_le_i32_e32 vcc_lo, s12, v0
	s_or_b32 s1, vcc_lo, s1
	s_waitcnt vmcnt(1)
	v_mul_f64 v[17:18], v[3:4], v[11:12]
	v_mul_f64 v[11:12], v[1:2], v[11:12]
	v_fma_f64 v[17:18], v[1:2], v[9:10], -v[17:18]
	s_delay_alu instid0(VALU_DEP_2) | instskip(SKIP_1) | instid1(VALU_DEP_2)
	v_fma_f64 v[11:12], v[3:4], v[9:10], v[11:12]
	s_waitcnt vmcnt(0)
	v_add_f64 v[9:10], v[13:14], v[17:18]
	s_delay_alu instid0(VALU_DEP_2) | instskip(SKIP_2) | instid1(VALU_DEP_1)
	v_add_f64 v[11:12], v[15:16], v[11:12]
	global_store_b128 v[5:6], v[9:12], off offset:-8
	v_add_co_u32 v5, s0, 0x4000, v5
	v_add_co_ci_u32_e64 v6, s0, 0, v6, s0
	s_and_not1_b32 exec_lo, exec_lo, s1
	s_cbranch_execnz .LBB25_3
.LBB25_4:
	s_nop 0
	s_sendmsg sendmsg(MSG_DEALLOC_VGPRS)
	s_endpgm
	.section	.rodata,"a",@progbits
	.p2align	6, 0x0
	.amdhsa_kernel _ZL19rocblas_sger_kernelILi1024E19rocblas_complex_numIdES1_PKS1_PS1_EviiT1_lT2_lllS6_lllT3_lmli
		.amdhsa_group_segment_fixed_size 0
		.amdhsa_private_segment_fixed_size 0
		.amdhsa_kernarg_size 132
		.amdhsa_user_sgpr_count 14
		.amdhsa_user_sgpr_dispatch_ptr 0
		.amdhsa_user_sgpr_queue_ptr 0
		.amdhsa_user_sgpr_kernarg_segment_ptr 1
		.amdhsa_user_sgpr_dispatch_id 0
		.amdhsa_user_sgpr_private_segment_size 0
		.amdhsa_wavefront_size32 1
		.amdhsa_uses_dynamic_stack 0
		.amdhsa_enable_private_segment 0
		.amdhsa_system_sgpr_workgroup_id_x 1
		.amdhsa_system_sgpr_workgroup_id_y 0
		.amdhsa_system_sgpr_workgroup_id_z 1
		.amdhsa_system_sgpr_workgroup_info 0
		.amdhsa_system_vgpr_workitem_id 0
		.amdhsa_next_free_vgpr 19
		.amdhsa_next_free_sgpr 32
		.amdhsa_reserve_vcc 1
		.amdhsa_float_round_mode_32 0
		.amdhsa_float_round_mode_16_64 0
		.amdhsa_float_denorm_mode_32 3
		.amdhsa_float_denorm_mode_16_64 3
		.amdhsa_dx10_clamp 1
		.amdhsa_ieee_mode 1
		.amdhsa_fp16_overflow 0
		.amdhsa_workgroup_processor_mode 1
		.amdhsa_memory_ordered 1
		.amdhsa_forward_progress 0
		.amdhsa_shared_vgpr_count 0
		.amdhsa_exception_fp_ieee_invalid_op 0
		.amdhsa_exception_fp_denorm_src 0
		.amdhsa_exception_fp_ieee_div_zero 0
		.amdhsa_exception_fp_ieee_overflow 0
		.amdhsa_exception_fp_ieee_underflow 0
		.amdhsa_exception_fp_ieee_inexact 0
		.amdhsa_exception_int_div_zero 0
	.end_amdhsa_kernel
	.section	.text._ZL19rocblas_sger_kernelILi1024E19rocblas_complex_numIdES1_PKS1_PS1_EviiT1_lT2_lllS6_lllT3_lmli,"axG",@progbits,_ZL19rocblas_sger_kernelILi1024E19rocblas_complex_numIdES1_PKS1_PS1_EviiT1_lT2_lllS6_lllT3_lmli,comdat
.Lfunc_end25:
	.size	_ZL19rocblas_sger_kernelILi1024E19rocblas_complex_numIdES1_PKS1_PS1_EviiT1_lT2_lllS6_lllT3_lmli, .Lfunc_end25-_ZL19rocblas_sger_kernelILi1024E19rocblas_complex_numIdES1_PKS1_PS1_EviiT1_lT2_lllS6_lllT3_lmli
                                        ; -- End function
	.section	.AMDGPU.csdata,"",@progbits
; Kernel info:
; codeLenInByte = 640
; NumSgprs: 34
; NumVgprs: 19
; ScratchSize: 0
; MemoryBound: 0
; FloatMode: 240
; IeeeMode: 1
; LDSByteSize: 0 bytes/workgroup (compile time only)
; SGPRBlocks: 4
; VGPRBlocks: 2
; NumSGPRsForWavesPerEU: 34
; NumVGPRsForWavesPerEU: 19
; Occupancy: 16
; WaveLimiterHint : 0
; COMPUTE_PGM_RSRC2:SCRATCH_EN: 0
; COMPUTE_PGM_RSRC2:USER_SGPR: 14
; COMPUTE_PGM_RSRC2:TRAP_HANDLER: 0
; COMPUTE_PGM_RSRC2:TGID_X_EN: 1
; COMPUTE_PGM_RSRC2:TGID_Y_EN: 0
; COMPUTE_PGM_RSRC2:TGID_Z_EN: 1
; COMPUTE_PGM_RSRC2:TIDIG_COMP_CNT: 0
	.section	.text._ZL18rocblas_ger_kernelILi32ELi32ELi2ELb0E19rocblas_complex_numIdEPKS1_S3_PS1_EviiT4_lT5_lllS6_lllT6_lmli,"axG",@progbits,_ZL18rocblas_ger_kernelILi32ELi32ELi2ELb0E19rocblas_complex_numIdEPKS1_S3_PS1_EviiT4_lT5_lllS6_lllT6_lmli,comdat
	.globl	_ZL18rocblas_ger_kernelILi32ELi32ELi2ELb0E19rocblas_complex_numIdEPKS1_S3_PS1_EviiT4_lT5_lllS6_lllT6_lmli ; -- Begin function _ZL18rocblas_ger_kernelILi32ELi32ELi2ELb0E19rocblas_complex_numIdEPKS1_S3_PS1_EviiT4_lT5_lllS6_lllT6_lmli
	.p2align	8
	.type	_ZL18rocblas_ger_kernelILi32ELi32ELi2ELb0E19rocblas_complex_numIdEPKS1_S3_PS1_EviiT4_lT5_lllS6_lllT6_lmli,@function
_ZL18rocblas_ger_kernelILi32ELi32ELi2ELb0E19rocblas_complex_numIdEPKS1_S3_PS1_EviiT4_lT5_lllS6_lllT6_lmli: ; @_ZL18rocblas_ger_kernelILi32ELi32ELi2ELb0E19rocblas_complex_numIdEPKS1_S3_PS1_EviiT4_lT5_lllS6_lllT6_lmli
; %bb.0:
	s_clause 0x1
	s_load_b64 s[8:9], s[0:1], 0x0
	s_load_b128 s[4:7], s[0:1], 0x8
	s_waitcnt lgkmcnt(0)
	s_add_i32 s2, s8, -1
	s_mul_i32 s3, s15, s7
	s_ashr_i32 s7, s2, 31
	s_mul_hi_u32 s10, s15, s6
	s_lshr_b32 s7, s7, 27
	s_mul_i32 s6, s15, s6
	s_add_i32 s2, s2, s7
	s_add_i32 s7, s10, s3
	s_ashr_i32 s2, s2, 5
	s_lshl_b64 s[6:7], s[6:7], 4
	s_add_i32 s13, s2, 1
	s_add_u32 s4, s4, s6
	s_addc_u32 s5, s5, s7
	v_cvt_f32_u32_e32 v1, s13
	s_load_b128 s[4:7], s[4:5], 0x0
	s_delay_alu instid0(VALU_DEP_1) | instskip(SKIP_2) | instid1(VALU_DEP_1)
	v_rcp_iflag_f32_e32 v1, v1
	s_waitcnt_depctr 0xfff
	v_mul_f32_e32 v1, 0x4f7ffffe, v1
	v_cvt_u32_f32_e32 v1, v1
	s_waitcnt lgkmcnt(0)
	v_cmp_neq_f64_e64 s3, s[4:5], 0
	v_cmp_neq_f64_e64 s10, s[6:7], 0
	s_delay_alu instid0(VALU_DEP_1)
	s_or_b32 s10, s3, s10
	v_readfirstlane_b32 s3, v1
	s_and_not1_b32 vcc_lo, exec_lo, s10
	s_cbranch_vccnz .LBB26_14
; %bb.1:
	s_not_b32 s2, s2
	v_and_b32_e32 v5, 0x3ff, v0
	s_mul_i32 s2, s2, s3
	v_bfe_u32 v6, v0, 10, 10
	s_mul_hi_u32 s2, s3, s2
	s_delay_alu instid0(SALU_CYCLE_1) | instskip(NEXT) | instid1(SALU_CYCLE_1)
	s_add_i32 s3, s3, s2
	s_mul_hi_u32 s12, s14, s3
	s_clause 0x1
	s_load_b64 s[10:11], s[0:1], 0x58
	s_load_b64 s[2:3], s[0:1], 0x38
	s_mul_i32 s16, s12, s13
	s_add_i32 s17, s12, 1
	s_sub_i32 s16, s14, s16
	s_delay_alu instid0(SALU_CYCLE_1)
	s_sub_i32 s18, s16, s13
	s_cmp_ge_u32 s16, s13
	s_cselect_b32 s12, s17, s12
	s_cselect_b32 s16, s18, s16
	s_add_i32 s17, s12, 1
	s_cmp_ge_u32 s16, s13
	s_cselect_b32 s12, s17, s12
	s_delay_alu instid0(SALU_CYCLE_1) | instskip(NEXT) | instid1(SALU_CYCLE_1)
	s_mul_i32 s13, s12, s13
	s_sub_i32 s13, s14, s13
	s_delay_alu instid0(SALU_CYCLE_1)
	v_lshl_add_u32 v4, s13, 5, v5
	s_mov_b32 s13, exec_lo
	v_cmpx_eq_u32_e32 0, v6
	s_cbranch_execz .LBB26_5
; %bb.2:
	v_mov_b32_e32 v0, 0
	v_mov_b32_e32 v1, 0
	s_mov_b32 s14, exec_lo
	s_delay_alu instid0(VALU_DEP_1)
	v_dual_mov_b32 v3, v1 :: v_dual_mov_b32 v2, v0
	v_cmpx_gt_i32_e64 s8, v4
	s_cbranch_execz .LBB26_4
; %bb.3:
	s_clause 0x2
	s_load_b128 s[16:19], s[0:1], 0x20
	s_load_b64 s[20:21], s[0:1], 0x30
	s_load_b64 s[22:23], s[0:1], 0x18
	v_ashrrev_i32_e32 v0, 31, v4
	s_waitcnt lgkmcnt(0)
	v_mul_lo_u32 v2, v4, s19
	s_delay_alu instid0(VALU_DEP_2)
	v_mul_lo_u32 v3, v0, s18
	v_mad_u64_u32 v[0:1], null, v4, s18, 0
	s_mul_i32 s19, s15, s21
	s_mul_hi_u32 s21, s15, s20
	s_mul_i32 s18, s15, s20
	s_add_i32 s19, s21, s19
	s_delay_alu instid0(SALU_CYCLE_1) | instskip(NEXT) | instid1(VALU_DEP_1)
	s_lshl_b64 s[18:19], s[18:19], 4
	v_add3_u32 v1, v1, v2, v3
	s_add_u32 s18, s22, s18
	s_addc_u32 s19, s23, s19
	s_lshl_b64 s[16:17], s[16:17], 4
	s_delay_alu instid0(VALU_DEP_1) | instskip(SKIP_2) | instid1(VALU_DEP_1)
	v_lshlrev_b64 v[0:1], 4, v[0:1]
	s_add_u32 s16, s18, s16
	s_addc_u32 s17, s19, s17
	v_add_co_u32 v0, vcc_lo, s16, v0
	s_delay_alu instid0(VALU_DEP_2)
	v_add_co_ci_u32_e32 v1, vcc_lo, s17, v1, vcc_lo
	global_load_b128 v[0:3], v[0:1], off
.LBB26_4:
	s_or_b32 exec_lo, exec_lo, s14
	v_lshlrev_b32_e32 v7, 4, v5
	s_waitcnt vmcnt(0)
	ds_store_b128 v7, v[0:3] offset:1024
.LBB26_5:
	s_or_b32 exec_lo, exec_lo, s13
	v_lshlrev_b32_e32 v7, 1, v6
	s_delay_alu instid0(VALU_DEP_1)
	v_lshl_add_u32 v6, s12, 6, v7
	s_mov_b32 s12, exec_lo
	v_cmpx_gt_u32_e32 2, v5
	s_cbranch_execz .LBB26_9
; %bb.6:
	v_mov_b32_e32 v0, 0
	v_mov_b32_e32 v1, 0
	v_or_b32_e32 v8, v6, v5
	s_mov_b32 s13, exec_lo
	s_delay_alu instid0(VALU_DEP_2) | instskip(NEXT) | instid1(VALU_DEP_2)
	v_dual_mov_b32 v3, v1 :: v_dual_mov_b32 v2, v0
	v_cmpx_gt_u32_e64 s9, v8
	s_cbranch_execz .LBB26_8
; %bb.7:
	s_clause 0x1
	s_load_b128 s[16:19], s[0:1], 0x40
	s_load_b64 s[20:21], s[0:1], 0x50
	s_waitcnt lgkmcnt(0)
	v_mad_u64_u32 v[0:1], null, v8, s18, 0
	s_mul_i32 s14, s15, s21
	s_mul_i32 s18, s15, s20
	s_delay_alu instid0(VALU_DEP_1) | instskip(SKIP_1) | instid1(SALU_CYCLE_1)
	v_mad_u64_u32 v[2:3], null, v8, s19, v[1:2]
	s_mul_hi_u32 s19, s15, s20
	s_add_i32 s19, s19, s14
	s_delay_alu instid0(SALU_CYCLE_1) | instskip(NEXT) | instid1(SALU_CYCLE_1)
	s_lshl_b64 s[18:19], s[18:19], 4
	s_add_u32 s14, s2, s18
	s_delay_alu instid0(VALU_DEP_1) | instskip(SKIP_2) | instid1(SALU_CYCLE_1)
	v_mov_b32_e32 v1, v2
	s_addc_u32 s18, s3, s19
	s_lshl_b64 s[2:3], s[16:17], 4
	s_add_u32 s2, s14, s2
	s_delay_alu instid0(VALU_DEP_1) | instskip(SKIP_1) | instid1(VALU_DEP_1)
	v_lshlrev_b64 v[0:1], 4, v[0:1]
	s_addc_u32 s3, s18, s3
	v_add_co_u32 v0, vcc_lo, s2, v0
	s_delay_alu instid0(VALU_DEP_2)
	v_add_co_ci_u32_e32 v1, vcc_lo, s3, v1, vcc_lo
	global_load_b128 v[0:3], v[0:1], off
.LBB26_8:
	s_or_b32 exec_lo, exec_lo, s13
	v_or_b32_e32 v8, v7, v5
	s_delay_alu instid0(VALU_DEP_1)
	v_lshlrev_b32_e32 v8, 4, v8
	s_waitcnt vmcnt(0)
	ds_store_b128 v8, v[0:3]
.LBB26_9:
	s_or_b32 exec_lo, exec_lo, s12
	s_waitcnt lgkmcnt(0)
	s_barrier
	buffer_gl0_inv
	s_mov_b32 s2, exec_lo
	v_cmpx_gt_i32_e64 s8, v4
	s_cbranch_execz .LBB26_14
; %bb.10:
	v_lshlrev_b32_e32 v0, 4, v5
	s_clause 0x1
	s_load_b64 s[12:13], s[0:1], 0x70
	s_load_b128 s[0:3], s[0:1], 0x60
	v_ashrrev_i32_e32 v5, 31, v4
	ds_load_b128 v[8:11], v0 offset:1024
	s_waitcnt lgkmcnt(0)
	v_mul_f64 v[0:1], s[6:7], v[10:11]
	v_mul_f64 v[2:3], s[4:5], v[10:11]
	s_delay_alu instid0(VALU_DEP_2) | instskip(NEXT) | instid1(VALU_DEP_2)
	v_fma_f64 v[0:1], s[4:5], v[8:9], -v[0:1]
	v_fma_f64 v[2:3], s[6:7], v[8:9], v[2:3]
	s_mul_i32 s4, s15, s13
	s_mul_hi_u32 s5, s15, s12
	v_lshlrev_b64 v[8:9], 4, v[4:5]
	s_add_i32 s5, s5, s4
	s_mul_i32 s4, s15, s12
	v_lshlrev_b32_e32 v4, 4, v7
	s_lshl_b64 s[4:5], s[4:5], 4
	s_delay_alu instid0(SALU_CYCLE_1) | instskip(SKIP_2) | instid1(SALU_CYCLE_1)
	s_add_u32 s4, s10, s4
	s_addc_u32 s5, s11, s5
	s_lshl_b64 s[0:1], s[0:1], 4
	s_add_u32 s0, s4, s0
	s_addc_u32 s1, s5, s1
	v_add_co_u32 v5, vcc_lo, s0, v8
	v_add_co_ci_u32_e32 v8, vcc_lo, s1, v9, vcc_lo
	s_mov_b32 s0, exec_lo
	v_cmpx_gt_i32_e64 s9, v6
	s_cbranch_execz .LBB26_12
; %bb.11:
	v_ashrrev_i32_e32 v7, 31, v6
	v_mul_lo_u32 v11, v6, s3
	v_mad_u64_u32 v[9:10], null, v6, s2, 0
	ds_load_b128 v[13:16], v4
	v_mul_lo_u32 v7, v7, s2
	s_delay_alu instid0(VALU_DEP_1) | instskip(NEXT) | instid1(VALU_DEP_1)
	v_add3_u32 v10, v10, v11, v7
	v_lshlrev_b64 v[9:10], 4, v[9:10]
	s_waitcnt lgkmcnt(0)
	v_mul_f64 v[19:20], v[2:3], v[15:16]
	s_delay_alu instid0(VALU_DEP_2) | instskip(NEXT) | instid1(VALU_DEP_3)
	v_add_co_u32 v17, vcc_lo, v5, v9
	v_add_co_ci_u32_e32 v18, vcc_lo, v8, v10, vcc_lo
	v_mul_f64 v[15:16], v[0:1], v[15:16]
	global_load_b128 v[9:12], v[17:18], off
	v_fma_f64 v[19:20], v[0:1], v[13:14], -v[19:20]
	v_fma_f64 v[13:14], v[2:3], v[13:14], v[15:16]
	s_waitcnt vmcnt(0)
	s_delay_alu instid0(VALU_DEP_2) | instskip(NEXT) | instid1(VALU_DEP_2)
	v_add_f64 v[9:10], v[9:10], v[19:20]
	v_add_f64 v[11:12], v[11:12], v[13:14]
	global_store_b128 v[17:18], v[9:12], off
.LBB26_12:
	s_or_b32 exec_lo, exec_lo, s0
	v_or_b32_e32 v6, 1, v6
	s_delay_alu instid0(VALU_DEP_1)
	v_cmp_gt_i32_e32 vcc_lo, s9, v6
	s_and_b32 exec_lo, exec_lo, vcc_lo
	s_cbranch_execz .LBB26_14
; %bb.13:
	v_ashrrev_i32_e32 v7, 31, v6
	v_mul_lo_u32 v11, v6, s3
	v_mad_u64_u32 v[9:10], null, v6, s2, 0
	s_delay_alu instid0(VALU_DEP_3) | instskip(NEXT) | instid1(VALU_DEP_1)
	v_mul_lo_u32 v6, v7, s2
	v_add3_u32 v10, v10, v11, v6
	s_delay_alu instid0(VALU_DEP_1)
	v_lshlrev_b64 v[6:7], 4, v[9:10]
	ds_load_b128 v[9:12], v4 offset:16
	v_add_co_u32 v13, vcc_lo, v5, v6
	v_add_co_ci_u32_e32 v14, vcc_lo, v8, v7, vcc_lo
	global_load_b128 v[5:8], v[13:14], off
	s_waitcnt lgkmcnt(0)
	v_mul_f64 v[15:16], v[2:3], v[11:12]
	v_mul_f64 v[11:12], v[0:1], v[11:12]
	s_delay_alu instid0(VALU_DEP_2) | instskip(NEXT) | instid1(VALU_DEP_2)
	v_fma_f64 v[0:1], v[0:1], v[9:10], -v[15:16]
	v_fma_f64 v[2:3], v[2:3], v[9:10], v[11:12]
	s_waitcnt vmcnt(0)
	s_delay_alu instid0(VALU_DEP_2) | instskip(NEXT) | instid1(VALU_DEP_2)
	v_add_f64 v[0:1], v[5:6], v[0:1]
	v_add_f64 v[2:3], v[7:8], v[2:3]
	global_store_b128 v[13:14], v[0:3], off
.LBB26_14:
	s_nop 0
	s_sendmsg sendmsg(MSG_DEALLOC_VGPRS)
	s_endpgm
	.section	.rodata,"a",@progbits
	.p2align	6, 0x0
	.amdhsa_kernel _ZL18rocblas_ger_kernelILi32ELi32ELi2ELb0E19rocblas_complex_numIdEPKS1_S3_PS1_EviiT4_lT5_lllS6_lllT6_lmli
		.amdhsa_group_segment_fixed_size 1536
		.amdhsa_private_segment_fixed_size 0
		.amdhsa_kernarg_size 124
		.amdhsa_user_sgpr_count 14
		.amdhsa_user_sgpr_dispatch_ptr 0
		.amdhsa_user_sgpr_queue_ptr 0
		.amdhsa_user_sgpr_kernarg_segment_ptr 1
		.amdhsa_user_sgpr_dispatch_id 0
		.amdhsa_user_sgpr_private_segment_size 0
		.amdhsa_wavefront_size32 1
		.amdhsa_uses_dynamic_stack 0
		.amdhsa_enable_private_segment 0
		.amdhsa_system_sgpr_workgroup_id_x 1
		.amdhsa_system_sgpr_workgroup_id_y 0
		.amdhsa_system_sgpr_workgroup_id_z 1
		.amdhsa_system_sgpr_workgroup_info 0
		.amdhsa_system_vgpr_workitem_id 1
		.amdhsa_next_free_vgpr 21
		.amdhsa_next_free_sgpr 24
		.amdhsa_reserve_vcc 1
		.amdhsa_float_round_mode_32 0
		.amdhsa_float_round_mode_16_64 0
		.amdhsa_float_denorm_mode_32 3
		.amdhsa_float_denorm_mode_16_64 3
		.amdhsa_dx10_clamp 1
		.amdhsa_ieee_mode 1
		.amdhsa_fp16_overflow 0
		.amdhsa_workgroup_processor_mode 1
		.amdhsa_memory_ordered 1
		.amdhsa_forward_progress 0
		.amdhsa_shared_vgpr_count 0
		.amdhsa_exception_fp_ieee_invalid_op 0
		.amdhsa_exception_fp_denorm_src 0
		.amdhsa_exception_fp_ieee_div_zero 0
		.amdhsa_exception_fp_ieee_overflow 0
		.amdhsa_exception_fp_ieee_underflow 0
		.amdhsa_exception_fp_ieee_inexact 0
		.amdhsa_exception_int_div_zero 0
	.end_amdhsa_kernel
	.section	.text._ZL18rocblas_ger_kernelILi32ELi32ELi2ELb0E19rocblas_complex_numIdEPKS1_S3_PS1_EviiT4_lT5_lllS6_lllT6_lmli,"axG",@progbits,_ZL18rocblas_ger_kernelILi32ELi32ELi2ELb0E19rocblas_complex_numIdEPKS1_S3_PS1_EviiT4_lT5_lllS6_lllT6_lmli,comdat
.Lfunc_end26:
	.size	_ZL18rocblas_ger_kernelILi32ELi32ELi2ELb0E19rocblas_complex_numIdEPKS1_S3_PS1_EviiT4_lT5_lllS6_lllT6_lmli, .Lfunc_end26-_ZL18rocblas_ger_kernelILi32ELi32ELi2ELb0E19rocblas_complex_numIdEPKS1_S3_PS1_EviiT4_lT5_lllS6_lllT6_lmli
                                        ; -- End function
	.section	.AMDGPU.csdata,"",@progbits
; Kernel info:
; codeLenInByte = 1264
; NumSgprs: 26
; NumVgprs: 21
; ScratchSize: 0
; MemoryBound: 0
; FloatMode: 240
; IeeeMode: 1
; LDSByteSize: 1536 bytes/workgroup (compile time only)
; SGPRBlocks: 3
; VGPRBlocks: 2
; NumSGPRsForWavesPerEU: 26
; NumVGPRsForWavesPerEU: 21
; Occupancy: 16
; WaveLimiterHint : 0
; COMPUTE_PGM_RSRC2:SCRATCH_EN: 0
; COMPUTE_PGM_RSRC2:USER_SGPR: 14
; COMPUTE_PGM_RSRC2:TRAP_HANDLER: 0
; COMPUTE_PGM_RSRC2:TGID_X_EN: 1
; COMPUTE_PGM_RSRC2:TGID_Y_EN: 0
; COMPUTE_PGM_RSRC2:TGID_Z_EN: 1
; COMPUTE_PGM_RSRC2:TIDIG_COMP_CNT: 1
	.section	.text._ZL18rocblas_ger_kernelILi32ELi32ELi2ELb0E19rocblas_complex_numIdES1_PKS1_PS1_EviiT4_lT5_lllS6_lllT6_lmli,"axG",@progbits,_ZL18rocblas_ger_kernelILi32ELi32ELi2ELb0E19rocblas_complex_numIdES1_PKS1_PS1_EviiT4_lT5_lllS6_lllT6_lmli,comdat
	.globl	_ZL18rocblas_ger_kernelILi32ELi32ELi2ELb0E19rocblas_complex_numIdES1_PKS1_PS1_EviiT4_lT5_lllS6_lllT6_lmli ; -- Begin function _ZL18rocblas_ger_kernelILi32ELi32ELi2ELb0E19rocblas_complex_numIdES1_PKS1_PS1_EviiT4_lT5_lllS6_lllT6_lmli
	.p2align	8
	.type	_ZL18rocblas_ger_kernelILi32ELi32ELi2ELb0E19rocblas_complex_numIdES1_PKS1_PS1_EviiT4_lT5_lllS6_lllT6_lmli,@function
_ZL18rocblas_ger_kernelILi32ELi32ELi2ELb0E19rocblas_complex_numIdES1_PKS1_PS1_EviiT4_lT5_lllS6_lllT6_lmli: ; @_ZL18rocblas_ger_kernelILi32ELi32ELi2ELb0E19rocblas_complex_numIdES1_PKS1_PS1_EviiT4_lT5_lllS6_lllT6_lmli
; %bb.0:
	s_clause 0x1
	s_load_b128 s[4:7], s[0:1], 0x8
	s_load_b64 s[8:9], s[0:1], 0x0
	s_waitcnt lgkmcnt(0)
	v_cmp_neq_f64_e64 s3, s[4:5], 0
	v_cmp_neq_f64_e64 s10, s[6:7], 0
	s_add_i32 s2, s8, -1
	s_delay_alu instid0(SALU_CYCLE_1) | instskip(NEXT) | instid1(SALU_CYCLE_1)
	s_ashr_i32 s11, s2, 31
	s_lshr_b32 s11, s11, 27
	s_delay_alu instid0(SALU_CYCLE_1) | instskip(NEXT) | instid1(SALU_CYCLE_1)
	s_add_i32 s2, s2, s11
	s_ashr_i32 s2, s2, 5
	s_delay_alu instid0(SALU_CYCLE_1) | instskip(NEXT) | instid1(SALU_CYCLE_1)
	s_add_i32 s13, s2, 1
	v_cvt_f32_u32_e32 v1, s13
	s_delay_alu instid0(VALU_DEP_1) | instskip(SKIP_2) | instid1(VALU_DEP_1)
	v_rcp_iflag_f32_e32 v1, v1
	s_waitcnt_depctr 0xfff
	v_mul_f32_e32 v1, 0x4f7ffffe, v1
	v_cvt_u32_f32_e32 v1, v1
	s_or_b32 s10, s3, s10
	s_delay_alu instid0(VALU_DEP_1)
	v_readfirstlane_b32 s3, v1
	s_and_not1_b32 vcc_lo, exec_lo, s10
	s_cbranch_vccnz .LBB27_14
; %bb.1:
	s_not_b32 s2, s2
	v_and_b32_e32 v5, 0x3ff, v0
	s_mul_i32 s2, s2, s3
	v_bfe_u32 v6, v0, 10, 10
	s_mul_hi_u32 s2, s3, s2
	s_delay_alu instid0(SALU_CYCLE_1) | instskip(NEXT) | instid1(SALU_CYCLE_1)
	s_add_i32 s3, s3, s2
	s_mul_hi_u32 s12, s14, s3
	s_clause 0x1
	s_load_b64 s[10:11], s[0:1], 0x60
	s_load_b64 s[2:3], s[0:1], 0x40
	s_mul_i32 s16, s12, s13
	s_add_i32 s17, s12, 1
	s_sub_i32 s16, s14, s16
	s_delay_alu instid0(SALU_CYCLE_1)
	s_sub_i32 s18, s16, s13
	s_cmp_ge_u32 s16, s13
	s_cselect_b32 s12, s17, s12
	s_cselect_b32 s16, s18, s16
	s_add_i32 s17, s12, 1
	s_cmp_ge_u32 s16, s13
	s_cselect_b32 s12, s17, s12
	s_delay_alu instid0(SALU_CYCLE_1) | instskip(NEXT) | instid1(SALU_CYCLE_1)
	s_mul_i32 s13, s12, s13
	s_sub_i32 s13, s14, s13
	s_delay_alu instid0(SALU_CYCLE_1)
	v_lshl_add_u32 v4, s13, 5, v5
	s_mov_b32 s13, exec_lo
	v_cmpx_eq_u32_e32 0, v6
	s_cbranch_execz .LBB27_5
; %bb.2:
	v_mov_b32_e32 v0, 0
	v_mov_b32_e32 v1, 0
	s_mov_b32 s14, exec_lo
	s_delay_alu instid0(VALU_DEP_1)
	v_dual_mov_b32 v3, v1 :: v_dual_mov_b32 v2, v0
	v_cmpx_gt_i32_e64 s8, v4
	s_cbranch_execz .LBB27_4
; %bb.3:
	s_clause 0x2
	s_load_b128 s[16:19], s[0:1], 0x28
	s_load_b64 s[20:21], s[0:1], 0x38
	s_load_b64 s[22:23], s[0:1], 0x20
	v_ashrrev_i32_e32 v0, 31, v4
	s_waitcnt lgkmcnt(0)
	v_mul_lo_u32 v2, v4, s19
	s_delay_alu instid0(VALU_DEP_2)
	v_mul_lo_u32 v3, v0, s18
	v_mad_u64_u32 v[0:1], null, v4, s18, 0
	s_mul_i32 s19, s15, s21
	s_mul_hi_u32 s21, s15, s20
	s_mul_i32 s18, s15, s20
	s_add_i32 s19, s21, s19
	s_delay_alu instid0(SALU_CYCLE_1) | instskip(NEXT) | instid1(VALU_DEP_1)
	s_lshl_b64 s[18:19], s[18:19], 4
	v_add3_u32 v1, v1, v2, v3
	s_add_u32 s18, s22, s18
	s_addc_u32 s19, s23, s19
	s_lshl_b64 s[16:17], s[16:17], 4
	s_delay_alu instid0(VALU_DEP_1) | instskip(SKIP_2) | instid1(VALU_DEP_1)
	v_lshlrev_b64 v[0:1], 4, v[0:1]
	s_add_u32 s16, s18, s16
	s_addc_u32 s17, s19, s17
	v_add_co_u32 v0, vcc_lo, s16, v0
	s_delay_alu instid0(VALU_DEP_2)
	v_add_co_ci_u32_e32 v1, vcc_lo, s17, v1, vcc_lo
	global_load_b128 v[0:3], v[0:1], off
.LBB27_4:
	s_or_b32 exec_lo, exec_lo, s14
	v_lshlrev_b32_e32 v7, 4, v5
	s_waitcnt vmcnt(0)
	ds_store_b128 v7, v[0:3] offset:1024
.LBB27_5:
	s_or_b32 exec_lo, exec_lo, s13
	v_lshlrev_b32_e32 v7, 1, v6
	s_delay_alu instid0(VALU_DEP_1)
	v_lshl_add_u32 v6, s12, 6, v7
	s_mov_b32 s12, exec_lo
	v_cmpx_gt_u32_e32 2, v5
	s_cbranch_execz .LBB27_9
; %bb.6:
	v_mov_b32_e32 v0, 0
	v_mov_b32_e32 v1, 0
	v_or_b32_e32 v8, v6, v5
	s_mov_b32 s13, exec_lo
	s_delay_alu instid0(VALU_DEP_2) | instskip(NEXT) | instid1(VALU_DEP_2)
	v_dual_mov_b32 v3, v1 :: v_dual_mov_b32 v2, v0
	v_cmpx_gt_u32_e64 s9, v8
	s_cbranch_execz .LBB27_8
; %bb.7:
	s_clause 0x1
	s_load_b128 s[16:19], s[0:1], 0x48
	s_load_b64 s[20:21], s[0:1], 0x58
	s_waitcnt lgkmcnt(0)
	v_mad_u64_u32 v[0:1], null, v8, s18, 0
	s_mul_i32 s14, s15, s21
	s_mul_i32 s18, s15, s20
	s_delay_alu instid0(VALU_DEP_1) | instskip(SKIP_1) | instid1(SALU_CYCLE_1)
	v_mad_u64_u32 v[2:3], null, v8, s19, v[1:2]
	s_mul_hi_u32 s19, s15, s20
	s_add_i32 s19, s19, s14
	s_delay_alu instid0(SALU_CYCLE_1) | instskip(NEXT) | instid1(SALU_CYCLE_1)
	s_lshl_b64 s[18:19], s[18:19], 4
	s_add_u32 s14, s2, s18
	s_delay_alu instid0(VALU_DEP_1) | instskip(SKIP_2) | instid1(SALU_CYCLE_1)
	v_mov_b32_e32 v1, v2
	s_addc_u32 s18, s3, s19
	s_lshl_b64 s[2:3], s[16:17], 4
	s_add_u32 s2, s14, s2
	s_delay_alu instid0(VALU_DEP_1) | instskip(SKIP_1) | instid1(VALU_DEP_1)
	v_lshlrev_b64 v[0:1], 4, v[0:1]
	s_addc_u32 s3, s18, s3
	v_add_co_u32 v0, vcc_lo, s2, v0
	s_delay_alu instid0(VALU_DEP_2)
	v_add_co_ci_u32_e32 v1, vcc_lo, s3, v1, vcc_lo
	global_load_b128 v[0:3], v[0:1], off
.LBB27_8:
	s_or_b32 exec_lo, exec_lo, s13
	v_or_b32_e32 v8, v7, v5
	s_delay_alu instid0(VALU_DEP_1)
	v_lshlrev_b32_e32 v8, 4, v8
	s_waitcnt vmcnt(0)
	ds_store_b128 v8, v[0:3]
.LBB27_9:
	s_or_b32 exec_lo, exec_lo, s12
	s_waitcnt lgkmcnt(0)
	s_barrier
	buffer_gl0_inv
	s_mov_b32 s2, exec_lo
	v_cmpx_gt_i32_e64 s8, v4
	s_cbranch_execz .LBB27_14
; %bb.10:
	v_lshlrev_b32_e32 v0, 4, v5
	s_clause 0x1
	s_load_b64 s[12:13], s[0:1], 0x78
	s_load_b128 s[0:3], s[0:1], 0x68
	v_ashrrev_i32_e32 v5, 31, v4
	ds_load_b128 v[8:11], v0 offset:1024
	s_waitcnt lgkmcnt(0)
	v_mul_f64 v[0:1], s[6:7], v[10:11]
	v_mul_f64 v[2:3], s[4:5], v[10:11]
	s_delay_alu instid0(VALU_DEP_2) | instskip(NEXT) | instid1(VALU_DEP_2)
	v_fma_f64 v[0:1], s[4:5], v[8:9], -v[0:1]
	v_fma_f64 v[2:3], s[6:7], v[8:9], v[2:3]
	s_mul_i32 s4, s15, s13
	s_mul_hi_u32 s5, s15, s12
	v_lshlrev_b64 v[8:9], 4, v[4:5]
	s_add_i32 s5, s5, s4
	s_mul_i32 s4, s15, s12
	v_lshlrev_b32_e32 v4, 4, v7
	s_lshl_b64 s[4:5], s[4:5], 4
	s_delay_alu instid0(SALU_CYCLE_1) | instskip(SKIP_2) | instid1(SALU_CYCLE_1)
	s_add_u32 s4, s10, s4
	s_addc_u32 s5, s11, s5
	s_lshl_b64 s[0:1], s[0:1], 4
	s_add_u32 s0, s4, s0
	s_addc_u32 s1, s5, s1
	v_add_co_u32 v5, vcc_lo, s0, v8
	v_add_co_ci_u32_e32 v8, vcc_lo, s1, v9, vcc_lo
	s_mov_b32 s0, exec_lo
	v_cmpx_gt_i32_e64 s9, v6
	s_cbranch_execz .LBB27_12
; %bb.11:
	v_ashrrev_i32_e32 v7, 31, v6
	v_mul_lo_u32 v11, v6, s3
	v_mad_u64_u32 v[9:10], null, v6, s2, 0
	ds_load_b128 v[13:16], v4
	v_mul_lo_u32 v7, v7, s2
	s_delay_alu instid0(VALU_DEP_1) | instskip(NEXT) | instid1(VALU_DEP_1)
	v_add3_u32 v10, v10, v11, v7
	v_lshlrev_b64 v[9:10], 4, v[9:10]
	s_waitcnt lgkmcnt(0)
	v_mul_f64 v[19:20], v[2:3], v[15:16]
	s_delay_alu instid0(VALU_DEP_2) | instskip(NEXT) | instid1(VALU_DEP_3)
	v_add_co_u32 v17, vcc_lo, v5, v9
	v_add_co_ci_u32_e32 v18, vcc_lo, v8, v10, vcc_lo
	v_mul_f64 v[15:16], v[0:1], v[15:16]
	global_load_b128 v[9:12], v[17:18], off
	v_fma_f64 v[19:20], v[0:1], v[13:14], -v[19:20]
	v_fma_f64 v[13:14], v[2:3], v[13:14], v[15:16]
	s_waitcnt vmcnt(0)
	s_delay_alu instid0(VALU_DEP_2) | instskip(NEXT) | instid1(VALU_DEP_2)
	v_add_f64 v[9:10], v[9:10], v[19:20]
	v_add_f64 v[11:12], v[11:12], v[13:14]
	global_store_b128 v[17:18], v[9:12], off
.LBB27_12:
	s_or_b32 exec_lo, exec_lo, s0
	v_or_b32_e32 v6, 1, v6
	s_delay_alu instid0(VALU_DEP_1)
	v_cmp_gt_i32_e32 vcc_lo, s9, v6
	s_and_b32 exec_lo, exec_lo, vcc_lo
	s_cbranch_execz .LBB27_14
; %bb.13:
	v_ashrrev_i32_e32 v7, 31, v6
	v_mul_lo_u32 v11, v6, s3
	v_mad_u64_u32 v[9:10], null, v6, s2, 0
	s_delay_alu instid0(VALU_DEP_3) | instskip(NEXT) | instid1(VALU_DEP_1)
	v_mul_lo_u32 v6, v7, s2
	v_add3_u32 v10, v10, v11, v6
	s_delay_alu instid0(VALU_DEP_1)
	v_lshlrev_b64 v[6:7], 4, v[9:10]
	ds_load_b128 v[9:12], v4 offset:16
	v_add_co_u32 v13, vcc_lo, v5, v6
	v_add_co_ci_u32_e32 v14, vcc_lo, v8, v7, vcc_lo
	global_load_b128 v[5:8], v[13:14], off
	s_waitcnt lgkmcnt(0)
	v_mul_f64 v[15:16], v[2:3], v[11:12]
	v_mul_f64 v[11:12], v[0:1], v[11:12]
	s_delay_alu instid0(VALU_DEP_2) | instskip(NEXT) | instid1(VALU_DEP_2)
	v_fma_f64 v[0:1], v[0:1], v[9:10], -v[15:16]
	v_fma_f64 v[2:3], v[2:3], v[9:10], v[11:12]
	s_waitcnt vmcnt(0)
	s_delay_alu instid0(VALU_DEP_2) | instskip(NEXT) | instid1(VALU_DEP_2)
	v_add_f64 v[0:1], v[5:6], v[0:1]
	v_add_f64 v[2:3], v[7:8], v[2:3]
	global_store_b128 v[13:14], v[0:3], off
.LBB27_14:
	s_nop 0
	s_sendmsg sendmsg(MSG_DEALLOC_VGPRS)
	s_endpgm
	.section	.rodata,"a",@progbits
	.p2align	6, 0x0
	.amdhsa_kernel _ZL18rocblas_ger_kernelILi32ELi32ELi2ELb0E19rocblas_complex_numIdES1_PKS1_PS1_EviiT4_lT5_lllS6_lllT6_lmli
		.amdhsa_group_segment_fixed_size 1536
		.amdhsa_private_segment_fixed_size 0
		.amdhsa_kernarg_size 132
		.amdhsa_user_sgpr_count 14
		.amdhsa_user_sgpr_dispatch_ptr 0
		.amdhsa_user_sgpr_queue_ptr 0
		.amdhsa_user_sgpr_kernarg_segment_ptr 1
		.amdhsa_user_sgpr_dispatch_id 0
		.amdhsa_user_sgpr_private_segment_size 0
		.amdhsa_wavefront_size32 1
		.amdhsa_uses_dynamic_stack 0
		.amdhsa_enable_private_segment 0
		.amdhsa_system_sgpr_workgroup_id_x 1
		.amdhsa_system_sgpr_workgroup_id_y 0
		.amdhsa_system_sgpr_workgroup_id_z 1
		.amdhsa_system_sgpr_workgroup_info 0
		.amdhsa_system_vgpr_workitem_id 1
		.amdhsa_next_free_vgpr 21
		.amdhsa_next_free_sgpr 24
		.amdhsa_reserve_vcc 1
		.amdhsa_float_round_mode_32 0
		.amdhsa_float_round_mode_16_64 0
		.amdhsa_float_denorm_mode_32 3
		.amdhsa_float_denorm_mode_16_64 3
		.amdhsa_dx10_clamp 1
		.amdhsa_ieee_mode 1
		.amdhsa_fp16_overflow 0
		.amdhsa_workgroup_processor_mode 1
		.amdhsa_memory_ordered 1
		.amdhsa_forward_progress 0
		.amdhsa_shared_vgpr_count 0
		.amdhsa_exception_fp_ieee_invalid_op 0
		.amdhsa_exception_fp_denorm_src 0
		.amdhsa_exception_fp_ieee_div_zero 0
		.amdhsa_exception_fp_ieee_overflow 0
		.amdhsa_exception_fp_ieee_underflow 0
		.amdhsa_exception_fp_ieee_inexact 0
		.amdhsa_exception_int_div_zero 0
	.end_amdhsa_kernel
	.section	.text._ZL18rocblas_ger_kernelILi32ELi32ELi2ELb0E19rocblas_complex_numIdES1_PKS1_PS1_EviiT4_lT5_lllS6_lllT6_lmli,"axG",@progbits,_ZL18rocblas_ger_kernelILi32ELi32ELi2ELb0E19rocblas_complex_numIdES1_PKS1_PS1_EviiT4_lT5_lllS6_lllT6_lmli,comdat
.Lfunc_end27:
	.size	_ZL18rocblas_ger_kernelILi32ELi32ELi2ELb0E19rocblas_complex_numIdES1_PKS1_PS1_EviiT4_lT5_lllS6_lllT6_lmli, .Lfunc_end27-_ZL18rocblas_ger_kernelILi32ELi32ELi2ELb0E19rocblas_complex_numIdES1_PKS1_PS1_EviiT4_lT5_lllS6_lllT6_lmli
                                        ; -- End function
	.section	.AMDGPU.csdata,"",@progbits
; Kernel info:
; codeLenInByte = 1236
; NumSgprs: 26
; NumVgprs: 21
; ScratchSize: 0
; MemoryBound: 0
; FloatMode: 240
; IeeeMode: 1
; LDSByteSize: 1536 bytes/workgroup (compile time only)
; SGPRBlocks: 3
; VGPRBlocks: 2
; NumSGPRsForWavesPerEU: 26
; NumVGPRsForWavesPerEU: 21
; Occupancy: 16
; WaveLimiterHint : 0
; COMPUTE_PGM_RSRC2:SCRATCH_EN: 0
; COMPUTE_PGM_RSRC2:USER_SGPR: 14
; COMPUTE_PGM_RSRC2:TRAP_HANDLER: 0
; COMPUTE_PGM_RSRC2:TGID_X_EN: 1
; COMPUTE_PGM_RSRC2:TGID_Y_EN: 0
; COMPUTE_PGM_RSRC2:TGID_Z_EN: 1
; COMPUTE_PGM_RSRC2:TIDIG_COMP_CNT: 1
	.section	.text._ZL34rocblas_ger_double_buffered_kernelILb1ELi64ELi16ELi2E19rocblas_complex_numIfE24rocblas_internal_val_ptrIS1_EPKS1_PS1_EvbiiT4_lT5_lllS8_lllT6_lmli,"axG",@progbits,_ZL34rocblas_ger_double_buffered_kernelILb1ELi64ELi16ELi2E19rocblas_complex_numIfE24rocblas_internal_val_ptrIS1_EPKS1_PS1_EvbiiT4_lT5_lllS8_lllT6_lmli,comdat
	.globl	_ZL34rocblas_ger_double_buffered_kernelILb1ELi64ELi16ELi2E19rocblas_complex_numIfE24rocblas_internal_val_ptrIS1_EPKS1_PS1_EvbiiT4_lT5_lllS8_lllT6_lmli ; -- Begin function _ZL34rocblas_ger_double_buffered_kernelILb1ELi64ELi16ELi2E19rocblas_complex_numIfE24rocblas_internal_val_ptrIS1_EPKS1_PS1_EvbiiT4_lT5_lllS8_lllT6_lmli
	.p2align	8
	.type	_ZL34rocblas_ger_double_buffered_kernelILb1ELi64ELi16ELi2E19rocblas_complex_numIfE24rocblas_internal_val_ptrIS1_EPKS1_PS1_EvbiiT4_lT5_lllS8_lllT6_lmli,@function
_ZL34rocblas_ger_double_buffered_kernelILb1ELi64ELi16ELi2E19rocblas_complex_numIfE24rocblas_internal_val_ptrIS1_EPKS1_PS1_EvbiiT4_lT5_lllS8_lllT6_lmli: ; @_ZL34rocblas_ger_double_buffered_kernelILb1ELi64ELi16ELi2E19rocblas_complex_numIfE24rocblas_internal_val_ptrIS1_EPKS1_PS1_EvbiiT4_lT5_lllS8_lllT6_lmli
; %bb.0:
	s_clause 0x1
	s_load_b32 s2, s[0:1], 0x0
	s_load_b128 s[4:7], s[0:1], 0x10
	s_mov_b32 s12, 0
	s_waitcnt lgkmcnt(0)
	s_bitcmp0_b32 s2, 0
	s_cbranch_scc0 .LBB28_2
; %bb.1:
	s_mul_i32 s2, s15, s7
	s_mul_hi_u32 s3, s15, s6
	s_delay_alu instid0(SALU_CYCLE_1) | instskip(SKIP_1) | instid1(SALU_CYCLE_1)
	s_add_i32 s3, s3, s2
	s_mul_i32 s2, s15, s6
	s_lshl_b64 s[2:3], s[2:3], 3
	s_delay_alu instid0(SALU_CYCLE_1)
	s_add_u32 s2, s4, s2
	s_addc_u32 s3, s5, s3
	s_load_b64 s[24:25], s[2:3], 0x0
	s_and_not1_b32 vcc_lo, exec_lo, s12
	s_cbranch_vccz .LBB28_3
	s_branch .LBB28_4
.LBB28_2:
	s_mov_b32 s12, -1
                                        ; implicit-def: $sgpr24
.LBB28_3:
	s_mov_b32 s12, 0
	s_waitcnt lgkmcnt(0)
	s_mov_b32 s25, s5
	s_mov_b32 s24, s4
.LBB28_4:
	s_waitcnt lgkmcnt(0)
	v_cmp_neq_f32_e64 s2, s24, 0
	v_cmp_neq_f32_e64 s3, s25, 0
	s_delay_alu instid0(VALU_DEP_1) | instskip(NEXT) | instid1(SALU_CYCLE_1)
	s_or_b32 s2, s2, s3
	s_and_not1_b32 vcc_lo, exec_lo, s2
	s_cbranch_vccnz .LBB28_6
; %bb.5:
	s_clause 0x4
	s_load_b64 s[26:27], s[0:1], 0x78
	s_load_b256 s[4:11], s[0:1], 0x58
	s_load_b256 s[16:23], s[0:1], 0x38
	s_load_b64 s[28:29], s[0:1], 0x20
	s_load_b128 s[0:3], s[0:1], 0x28
	v_and_b32_e32 v1, 0x3ff, v0
	v_bfe_u32 v0, v0, 10, 10
	s_delay_alu instid0(VALU_DEP_2) | instskip(NEXT) | instid1(VALU_DEP_2)
	v_and_b32_e32 v16, 31, v1
	v_lshl_add_u32 v0, v0, 6, v1
	s_delay_alu instid0(VALU_DEP_2) | instskip(NEXT) | instid1(VALU_DEP_2)
	v_or_b32_e32 v10, 32, v16
	v_lshrrev_b32_e32 v9, 4, v0
	s_waitcnt lgkmcnt(0)
	s_mul_i32 s27, s15, s27
	s_mul_hi_u32 s30, s15, s26
	s_mul_i32 s31, s12, s26
	s_add_i32 s27, s30, s27
	s_mul_i32 s26, s15, s26
	s_add_i32 s27, s27, s31
	s_mul_i32 s5, s15, s5
	s_lshl_b64 s[26:27], s[26:27], 3
	s_mul_hi_u32 s30, s15, s4
	s_add_u32 s26, s6, s26
	s_addc_u32 s27, s7, s27
	s_lshl_b64 s[6:7], s[8:9], 3
	s_mul_i32 s8, s12, s4
	s_add_u32 s6, s26, s6
	s_addc_u32 s7, s27, s7
	s_add_i32 s5, s30, s5
	s_mul_i32 s4, s15, s4
	s_add_i32 s5, s5, s8
	v_mad_u64_u32 v[0:1], null, v16, s2, 0
	s_lshl_b64 s[4:5], s[4:5], 3
	v_mad_u64_u32 v[2:3], null, v10, s2, 0
	s_mul_i32 s8, s15, s17
	s_add_u32 s17, s18, s4
	s_addc_u32 s18, s19, s5
	s_lshl_b64 s[4:5], s[20:21], 3
	s_mul_hi_u32 s9, s15, s16
	s_add_u32 s17, s17, s4
	s_mul_i32 s12, s12, s16
	s_addc_u32 s18, s18, s5
	s_add_i32 s5, s9, s8
	s_mul_i32 s4, s15, s16
	s_add_i32 s5, s5, s12
	v_mad_u64_u32 v[4:5], null, v16, s3, v[1:2]
	s_lshl_b64 s[4:5], s[4:5], 3
	v_or_b32_e32 v17, 1, v9
	s_add_u32 s4, s28, s4
	s_addc_u32 s5, s29, s5
	s_lshl_b64 s[0:1], s[0:1], 3
	s_delay_alu instid0(VALU_DEP_2)
	v_mov_b32_e32 v1, v4
	s_add_u32 s8, s4, s0
	s_addc_u32 s9, s5, s1
	s_lshl_b32 s0, s13, 6
	v_mad_u64_u32 v[7:8], null, v10, s3, v[3:4]
	v_mad_u64_u32 v[10:11], null, v17, s22, 0
	v_and_b32_e32 v15, 0x1ffe, v9
	s_ashr_i32 s1, s0, 31
	s_mul_i32 s13, s0, s3
	s_lshl_b64 s[4:5], s[0:1], 3
	s_mul_i32 s1, s1, s2
	v_mad_u64_u32 v[5:6], null, v15, s10, 0
	s_add_u32 s6, s6, s4
	s_addc_u32 s7, s7, s5
	s_lshl_b32 s12, s14, 6
	v_lshlrev_b64 v[0:1], 3, v[0:1]
	s_mul_i32 s4, s12, s11
	s_mul_hi_u32 s5, s12, s10
	s_ashr_i32 s14, s12, 31
	s_add_i32 s5, s5, s4
	s_mul_i32 s15, s14, s10
	s_mul_i32 s4, s12, s10
	s_add_i32 s5, s5, s15
	v_mov_b32_e32 v3, v6
	s_lshl_b64 s[4:5], s[4:5], 3
	s_mul_hi_u32 s15, s0, s2
	s_add_u32 s4, s6, s4
	s_addc_u32 s5, s7, s5
	s_add_i32 s6, s15, s13
	v_mov_b32_e32 v6, v11
	v_mad_u64_u32 v[12:13], null, v15, s11, v[3:4]
	v_mov_b32_e32 v3, v7
	s_mul_i32 s0, s0, s2
	s_add_i32 s1, s6, s1
	v_mad_u64_u32 v[8:9], null, v15, s22, 0
	s_lshl_b64 s[0:1], s[0:1], 3
	v_lshlrev_b64 v[2:3], 3, v[2:3]
	s_add_u32 s0, s8, s0
	s_addc_u32 s6, s9, s1
	v_add_co_u32 v0, vcc_lo, s0, v0
	v_add_co_ci_u32_e32 v1, vcc_lo, s6, v1, vcc_lo
	s_delay_alu instid0(VALU_DEP_3)
	v_add_co_u32 v2, vcc_lo, s0, v2
	v_add_co_ci_u32_e32 v3, vcc_lo, s6, v3, vcc_lo
	s_clause 0x1
	global_load_b64 v[0:1], v[0:1], off
	global_load_b64 v[2:3], v[2:3], off
	v_mov_b32_e32 v4, v9
	s_mul_i32 s2, s12, s23
	s_mul_hi_u32 s1, s12, s22
	s_mul_i32 s14, s14, s22
	s_add_i32 s1, s1, s2
	v_mad_u64_u32 v[13:14], null, v15, s23, v[4:5]
	v_mad_u64_u32 v[14:15], null, v17, s23, v[6:7]
	s_add_i32 s1, s1, s14
	s_mul_i32 s0, s12, s22
	s_lshl_b64 s[2:3], s[10:11], 3
	s_lshl_b64 s[0:1], s[0:1], 3
	v_mov_b32_e32 v6, v12
	s_add_u32 s0, s17, s0
	s_addc_u32 s1, s18, s1
	s_delay_alu instid0(VALU_DEP_1) | instskip(SKIP_2) | instid1(VALU_DEP_1)
	v_lshlrev_b64 v[4:5], 3, v[5:6]
	s_waitcnt vmcnt(1)
	v_dual_mul_f32 v20, s24, v1 :: v_dual_mov_b32 v9, v13
	v_dual_fmac_f32 v20, s25, v0 :: v_dual_mov_b32 v11, v14
	s_delay_alu instid0(VALU_DEP_2) | instskip(NEXT) | instid1(VALU_DEP_2)
	v_lshlrev_b64 v[7:8], 3, v[8:9]
	v_lshlrev_b64 v[9:10], 3, v[10:11]
	s_delay_alu instid0(VALU_DEP_2) | instskip(NEXT) | instid1(VALU_DEP_3)
	v_add_co_u32 v7, vcc_lo, s0, v7
	v_add_co_ci_u32_e32 v8, vcc_lo, s1, v8, vcc_lo
	s_delay_alu instid0(VALU_DEP_3) | instskip(NEXT) | instid1(VALU_DEP_4)
	v_add_co_u32 v9, vcc_lo, s0, v9
	v_add_co_ci_u32_e32 v10, vcc_lo, s1, v10, vcc_lo
	s_clause 0x1
	global_load_b64 v[6:7], v[7:8], off
	global_load_b64 v[8:9], v[9:10], off
	v_lshlrev_b32_e32 v11, 3, v16
	v_add_co_u32 v4, vcc_lo, s4, v4
	v_add_co_ci_u32_e32 v5, vcc_lo, s5, v5, vcc_lo
	s_waitcnt vmcnt(0)
	v_dual_mul_f32 v21, s25, v3 :: v_dual_mul_f32 v22, v20, v9
	s_delay_alu instid0(VALU_DEP_3) | instskip(NEXT) | instid1(VALU_DEP_3)
	v_add_co_u32 v4, vcc_lo, v4, v11
	v_add_co_ci_u32_e32 v5, vcc_lo, 0, v5, vcc_lo
	v_mul_f32_e32 v3, s24, v3
	s_delay_alu instid0(VALU_DEP_3) | instskip(NEXT) | instid1(VALU_DEP_3)
	v_add_co_u32 v10, vcc_lo, v4, s2
	v_add_co_ci_u32_e32 v11, vcc_lo, s3, v5, vcc_lo
	global_load_b64 v[12:13], v[4:5], off
	s_clause 0x1
	global_load_b64 v[14:15], v[10:11], off
	global_load_b64 v[16:17], v[10:11], off offset:256
	global_load_b64 v[18:19], v[4:5], off offset:256
	v_fmac_f32_e32 v3, s25, v2
	s_delay_alu instid0(VALU_DEP_1) | instskip(NEXT) | instid1(VALU_DEP_1)
	v_dual_mul_f32 v1, s25, v1 :: v_dual_mul_f32 v24, v3, v7
	v_fma_f32 v0, s24, v0, -v1
	v_fma_f32 v1, s24, v2, -v21
	v_mul_f32_e32 v2, v20, v7
	s_delay_alu instid0(VALU_DEP_2) | instskip(NEXT) | instid1(VALU_DEP_2)
	v_dual_mul_f32 v21, v0, v7 :: v_dual_fmac_f32 v24, v1, v6
	v_dual_fmac_f32 v2, v0, v6 :: v_dual_mul_f32 v7, v1, v7
	v_fmac_f32_e32 v22, v0, v8
	v_mul_f32_e32 v23, v0, v9
	s_delay_alu instid0(VALU_DEP_4)
	v_fma_f32 v21, v20, v6, -v21
	s_waitcnt vmcnt(3)
	v_add_f32_e32 v0, v12, v2
	s_waitcnt vmcnt(2)
	v_add_f32_e32 v2, v14, v22
	v_fma_f32 v7, v3, v6, -v7
	s_waitcnt vmcnt(0)
	v_dual_add_f32 v6, v18, v24 :: v_dual_mul_f32 v25, v3, v9
	v_mul_f32_e32 v9, v1, v9
	v_fma_f32 v20, v20, v8, -v23
	v_add_f32_e32 v7, v19, v7
	s_delay_alu instid0(VALU_DEP_4) | instskip(NEXT) | instid1(VALU_DEP_4)
	v_fmac_f32_e32 v25, v1, v8
	v_fma_f32 v9, v3, v8, -v9
	v_add_f32_e32 v1, v13, v21
	s_delay_alu instid0(VALU_DEP_3) | instskip(NEXT) | instid1(VALU_DEP_3)
	v_dual_add_f32 v3, v15, v20 :: v_dual_add_f32 v8, v16, v25
	v_add_f32_e32 v9, v17, v9
	global_store_b64 v[4:5], v[0:1], off
	s_clause 0x1
	global_store_b64 v[10:11], v[2:3], off
	global_store_b64 v[4:5], v[6:7], off offset:256
	global_store_b64 v[10:11], v[8:9], off offset:256
.LBB28_6:
	s_nop 0
	s_sendmsg sendmsg(MSG_DEALLOC_VGPRS)
	s_endpgm
	.section	.rodata,"a",@progbits
	.p2align	6, 0x0
	.amdhsa_kernel _ZL34rocblas_ger_double_buffered_kernelILb1ELi64ELi16ELi2E19rocblas_complex_numIfE24rocblas_internal_val_ptrIS1_EPKS1_PS1_EvbiiT4_lT5_lllS8_lllT6_lmli
		.amdhsa_group_segment_fixed_size 0
		.amdhsa_private_segment_fixed_size 0
		.amdhsa_kernarg_size 132
		.amdhsa_user_sgpr_count 13
		.amdhsa_user_sgpr_dispatch_ptr 0
		.amdhsa_user_sgpr_queue_ptr 0
		.amdhsa_user_sgpr_kernarg_segment_ptr 1
		.amdhsa_user_sgpr_dispatch_id 0
		.amdhsa_user_sgpr_private_segment_size 0
		.amdhsa_wavefront_size32 1
		.amdhsa_uses_dynamic_stack 0
		.amdhsa_enable_private_segment 0
		.amdhsa_system_sgpr_workgroup_id_x 1
		.amdhsa_system_sgpr_workgroup_id_y 1
		.amdhsa_system_sgpr_workgroup_id_z 1
		.amdhsa_system_sgpr_workgroup_info 0
		.amdhsa_system_vgpr_workitem_id 1
		.amdhsa_next_free_vgpr 26
		.amdhsa_next_free_sgpr 32
		.amdhsa_reserve_vcc 1
		.amdhsa_float_round_mode_32 0
		.amdhsa_float_round_mode_16_64 0
		.amdhsa_float_denorm_mode_32 3
		.amdhsa_float_denorm_mode_16_64 3
		.amdhsa_dx10_clamp 1
		.amdhsa_ieee_mode 1
		.amdhsa_fp16_overflow 0
		.amdhsa_workgroup_processor_mode 1
		.amdhsa_memory_ordered 1
		.amdhsa_forward_progress 0
		.amdhsa_shared_vgpr_count 0
		.amdhsa_exception_fp_ieee_invalid_op 0
		.amdhsa_exception_fp_denorm_src 0
		.amdhsa_exception_fp_ieee_div_zero 0
		.amdhsa_exception_fp_ieee_overflow 0
		.amdhsa_exception_fp_ieee_underflow 0
		.amdhsa_exception_fp_ieee_inexact 0
		.amdhsa_exception_int_div_zero 0
	.end_amdhsa_kernel
	.section	.text._ZL34rocblas_ger_double_buffered_kernelILb1ELi64ELi16ELi2E19rocblas_complex_numIfE24rocblas_internal_val_ptrIS1_EPKS1_PS1_EvbiiT4_lT5_lllS8_lllT6_lmli,"axG",@progbits,_ZL34rocblas_ger_double_buffered_kernelILb1ELi64ELi16ELi2E19rocblas_complex_numIfE24rocblas_internal_val_ptrIS1_EPKS1_PS1_EvbiiT4_lT5_lllS8_lllT6_lmli,comdat
.Lfunc_end28:
	.size	_ZL34rocblas_ger_double_buffered_kernelILb1ELi64ELi16ELi2E19rocblas_complex_numIfE24rocblas_internal_val_ptrIS1_EPKS1_PS1_EvbiiT4_lT5_lllS8_lllT6_lmli, .Lfunc_end28-_ZL34rocblas_ger_double_buffered_kernelILb1ELi64ELi16ELi2E19rocblas_complex_numIfE24rocblas_internal_val_ptrIS1_EPKS1_PS1_EvbiiT4_lT5_lllS8_lllT6_lmli
                                        ; -- End function
	.section	.AMDGPU.csdata,"",@progbits
; Kernel info:
; codeLenInByte = 1124
; NumSgprs: 34
; NumVgprs: 26
; ScratchSize: 0
; MemoryBound: 0
; FloatMode: 240
; IeeeMode: 1
; LDSByteSize: 0 bytes/workgroup (compile time only)
; SGPRBlocks: 4
; VGPRBlocks: 3
; NumSGPRsForWavesPerEU: 34
; NumVGPRsForWavesPerEU: 26
; Occupancy: 16
; WaveLimiterHint : 0
; COMPUTE_PGM_RSRC2:SCRATCH_EN: 0
; COMPUTE_PGM_RSRC2:USER_SGPR: 13
; COMPUTE_PGM_RSRC2:TRAP_HANDLER: 0
; COMPUTE_PGM_RSRC2:TGID_X_EN: 1
; COMPUTE_PGM_RSRC2:TGID_Y_EN: 1
; COMPUTE_PGM_RSRC2:TGID_Z_EN: 1
; COMPUTE_PGM_RSRC2:TIDIG_COMP_CNT: 1
	.section	.text._ZL18rocblas_ger_kernelILi32ELi32ELi2ELb1E19rocblas_complex_numIfEPKS1_S3_PS1_EviiT4_lT5_lllS6_lllT6_lmli,"axG",@progbits,_ZL18rocblas_ger_kernelILi32ELi32ELi2ELb1E19rocblas_complex_numIfEPKS1_S3_PS1_EviiT4_lT5_lllS6_lllT6_lmli,comdat
	.globl	_ZL18rocblas_ger_kernelILi32ELi32ELi2ELb1E19rocblas_complex_numIfEPKS1_S3_PS1_EviiT4_lT5_lllS6_lllT6_lmli ; -- Begin function _ZL18rocblas_ger_kernelILi32ELi32ELi2ELb1E19rocblas_complex_numIfEPKS1_S3_PS1_EviiT4_lT5_lllS6_lllT6_lmli
	.p2align	8
	.type	_ZL18rocblas_ger_kernelILi32ELi32ELi2ELb1E19rocblas_complex_numIfEPKS1_S3_PS1_EviiT4_lT5_lllS6_lllT6_lmli,@function
_ZL18rocblas_ger_kernelILi32ELi32ELi2ELb1E19rocblas_complex_numIfEPKS1_S3_PS1_EviiT4_lT5_lllS6_lllT6_lmli: ; @_ZL18rocblas_ger_kernelILi32ELi32ELi2ELb1E19rocblas_complex_numIfEPKS1_S3_PS1_EviiT4_lT5_lllS6_lllT6_lmli
; %bb.0:
	s_clause 0x1
	s_load_b64 s[4:5], s[0:1], 0x0
	s_load_b128 s[8:11], s[0:1], 0x8
	s_waitcnt lgkmcnt(0)
	s_add_i32 s2, s4, -1
	s_mul_i32 s7, s15, s11
	s_ashr_i32 s3, s2, 31
	s_mul_hi_u32 s11, s15, s10
	s_lshr_b32 s3, s3, 27
	s_mul_i32 s6, s15, s10
	s_add_i32 s2, s2, s3
	s_add_i32 s7, s11, s7
	s_ashr_i32 s2, s2, 5
	s_lshl_b64 s[6:7], s[6:7], 3
	s_add_i32 s11, s2, 1
	s_add_u32 s6, s8, s6
	v_cvt_f32_u32_e32 v1, s11
	s_addc_u32 s7, s9, s7
	s_load_b64 s[6:7], s[6:7], 0x0
	s_delay_alu instid0(VALU_DEP_1) | instskip(SKIP_2) | instid1(VALU_DEP_1)
	v_rcp_iflag_f32_e32 v1, v1
	s_waitcnt_depctr 0xfff
	v_mul_f32_e32 v1, 0x4f7ffffe, v1
	v_cvt_u32_f32_e32 v1, v1
	s_waitcnt lgkmcnt(0)
	s_or_b32 s8, s6, s7
	s_delay_alu instid0(SALU_CYCLE_1) | instskip(NEXT) | instid1(VALU_DEP_1)
	s_bitset0_b32 s8, 31
	v_readfirstlane_b32 s3, v1
	s_cmp_eq_u32 s8, 0
	s_cbranch_scc1 .LBB29_14
; %bb.1:
	s_not_b32 s2, s2
	v_and_b32_e32 v3, 0x3ff, v0
	s_mul_i32 s2, s2, s3
	v_bfe_u32 v4, v0, 10, 10
	s_mul_hi_u32 s2, s3, s2
	s_delay_alu instid0(SALU_CYCLE_1) | instskip(NEXT) | instid1(SALU_CYCLE_1)
	s_add_i32 s3, s3, s2
	s_mul_hi_u32 s10, s14, s3
	s_clause 0x1
	s_load_b64 s[8:9], s[0:1], 0x58
	s_load_b64 s[2:3], s[0:1], 0x38
	s_mul_i32 s12, s10, s11
	s_add_i32 s13, s10, 1
	s_sub_i32 s12, s14, s12
	s_delay_alu instid0(SALU_CYCLE_1)
	s_sub_i32 s16, s12, s11
	s_cmp_ge_u32 s12, s11
	s_cselect_b32 s10, s13, s10
	s_cselect_b32 s12, s16, s12
	s_add_i32 s13, s10, 1
	s_cmp_ge_u32 s12, s11
	s_cselect_b32 s10, s13, s10
	s_delay_alu instid0(SALU_CYCLE_1) | instskip(NEXT) | instid1(SALU_CYCLE_1)
	s_mul_i32 s11, s10, s11
	s_sub_i32 s11, s14, s11
	s_delay_alu instid0(SALU_CYCLE_1)
	v_lshl_add_u32 v0, s11, 5, v3
	s_mov_b32 s11, exec_lo
	v_cmpx_eq_u32_e32 0, v4
	s_cbranch_execz .LBB29_5
; %bb.2:
	v_dual_mov_b32 v1, 0 :: v_dual_mov_b32 v2, 0
	s_mov_b32 s12, exec_lo
	v_cmpx_gt_i32_e64 s4, v0
	s_cbranch_execz .LBB29_4
; %bb.3:
	s_clause 0x2
	s_load_b128 s[16:19], s[0:1], 0x20
	s_load_b64 s[20:21], s[0:1], 0x30
	s_load_b64 s[22:23], s[0:1], 0x18
	v_ashrrev_i32_e32 v1, 31, v0
	s_waitcnt lgkmcnt(0)
	v_mul_lo_u32 v5, v0, s19
	s_delay_alu instid0(VALU_DEP_2)
	v_mul_lo_u32 v6, v1, s18
	v_mad_u64_u32 v[1:2], null, v0, s18, 0
	s_mul_i32 s13, s15, s21
	s_mul_hi_u32 s14, s15, s20
	s_mul_i32 s18, s15, s20
	s_add_i32 s19, s14, s13
	s_delay_alu instid0(SALU_CYCLE_1) | instskip(NEXT) | instid1(VALU_DEP_1)
	s_lshl_b64 s[18:19], s[18:19], 3
	v_add3_u32 v2, v2, v5, v6
	s_add_u32 s13, s22, s18
	s_addc_u32 s14, s23, s19
	s_lshl_b64 s[16:17], s[16:17], 3
	s_delay_alu instid0(VALU_DEP_1) | instskip(SKIP_2) | instid1(VALU_DEP_1)
	v_lshlrev_b64 v[1:2], 3, v[1:2]
	s_add_u32 s13, s13, s16
	s_addc_u32 s14, s14, s17
	v_add_co_u32 v1, vcc_lo, s13, v1
	s_delay_alu instid0(VALU_DEP_2)
	v_add_co_ci_u32_e32 v2, vcc_lo, s14, v2, vcc_lo
	global_load_b64 v[1:2], v[1:2], off
.LBB29_4:
	s_or_b32 exec_lo, exec_lo, s12
	v_lshlrev_b32_e32 v5, 3, v3
	s_waitcnt vmcnt(0)
	ds_store_b64 v5, v[1:2] offset:512
.LBB29_5:
	s_or_b32 exec_lo, exec_lo, s11
	v_lshlrev_b32_e32 v5, 1, v4
	s_delay_alu instid0(VALU_DEP_1)
	v_lshl_add_u32 v4, s10, 6, v5
	s_mov_b32 s10, exec_lo
	v_cmpx_gt_u32_e32 2, v3
	s_cbranch_execz .LBB29_9
; %bb.6:
	s_delay_alu instid0(VALU_DEP_2) | instskip(SKIP_2) | instid1(VALU_DEP_2)
	v_or_b32_e32 v6, v4, v3
	v_dual_mov_b32 v1, 0 :: v_dual_mov_b32 v2, 0
	s_mov_b32 s11, exec_lo
	v_cmpx_gt_u32_e64 s5, v6
	s_cbranch_execz .LBB29_8
; %bb.7:
	s_clause 0x1
	s_load_b128 s[16:19], s[0:1], 0x40
	s_load_b64 s[12:13], s[0:1], 0x50
	s_waitcnt lgkmcnt(0)
	v_mad_u64_u32 v[1:2], null, v6, s18, 0
	s_mul_i32 s13, s15, s13
	s_mul_hi_u32 s14, s15, s12
	s_mul_i32 s12, s15, s12
	s_add_i32 s13, s14, s13
	s_delay_alu instid0(SALU_CYCLE_1) | instskip(NEXT) | instid1(VALU_DEP_1)
	s_lshl_b64 s[12:13], s[12:13], 3
	v_mad_u64_u32 v[7:8], null, v6, s19, v[2:3]
	s_add_u32 s12, s2, s12
	s_addc_u32 s13, s3, s13
	s_lshl_b64 s[2:3], s[16:17], 3
	s_delay_alu instid0(SALU_CYCLE_1) | instskip(SKIP_1) | instid1(VALU_DEP_1)
	s_add_u32 s2, s12, s2
	s_addc_u32 s3, s13, s3
	v_mov_b32_e32 v2, v7
	s_delay_alu instid0(VALU_DEP_1) | instskip(NEXT) | instid1(VALU_DEP_1)
	v_lshlrev_b64 v[1:2], 3, v[1:2]
	v_add_co_u32 v1, vcc_lo, s2, v1
	s_delay_alu instid0(VALU_DEP_2)
	v_add_co_ci_u32_e32 v2, vcc_lo, s3, v2, vcc_lo
	global_load_b64 v[1:2], v[1:2], off
.LBB29_8:
	s_or_b32 exec_lo, exec_lo, s11
	v_or_b32_e32 v6, v5, v3
	s_delay_alu instid0(VALU_DEP_1)
	v_lshlrev_b32_e32 v6, 3, v6
	s_waitcnt vmcnt(0)
	ds_store_b64 v6, v[1:2]
.LBB29_9:
	s_or_b32 exec_lo, exec_lo, s10
	s_waitcnt lgkmcnt(0)
	s_barrier
	buffer_gl0_inv
	s_mov_b32 s2, exec_lo
	v_cmpx_gt_i32_e64 s4, v0
	s_cbranch_execz .LBB29_14
; %bb.10:
	s_load_b64 s[10:11], s[0:1], 0x70
	v_lshlrev_b32_e32 v1, 3, v3
	s_load_b128 s[0:3], s[0:1], 0x60
	ds_load_b64 v[6:7], v1 offset:512
	v_ashrrev_i32_e32 v1, 31, v0
	s_waitcnt lgkmcnt(0)
	s_mul_i32 s4, s15, s11
	s_mul_hi_u32 s11, s15, s10
	s_mul_i32 s10, s15, s10
	s_add_i32 s11, s11, s4
	s_delay_alu instid0(SALU_CYCLE_1)
	s_lshl_b64 s[10:11], s[10:11], 3
	v_mul_f32_e32 v3, s7, v7
	v_mul_f32_e32 v2, s6, v7
	v_lshlrev_b64 v[7:8], 3, v[0:1]
	v_lshlrev_b32_e32 v1, 3, v5
	s_add_u32 s4, s8, s10
	s_addc_u32 s8, s9, s11
	s_lshl_b64 s[0:1], s[0:1], 3
	v_fma_f32 v0, v6, s6, -v3
	s_add_u32 s0, s4, s0
	s_addc_u32 s1, s8, s1
	v_add_co_u32 v3, s0, s0, v7
	v_fmac_f32_e32 v2, s7, v6
	v_add_co_ci_u32_e64 v6, s0, s1, v8, s0
	s_mov_b32 s0, exec_lo
	v_cmpx_gt_i32_e64 s5, v4
	s_cbranch_execz .LBB29_12
; %bb.11:
	v_ashrrev_i32_e32 v5, 31, v4
	v_mul_lo_u32 v9, v4, s3
	v_mad_u64_u32 v[7:8], null, v4, s2, 0
	ds_load_b64 v[11:12], v1
	v_mul_lo_u32 v5, v5, s2
	s_delay_alu instid0(VALU_DEP_1) | instskip(NEXT) | instid1(VALU_DEP_1)
	v_add3_u32 v8, v8, v9, v5
	v_lshlrev_b64 v[7:8], 3, v[7:8]
	s_waitcnt lgkmcnt(0)
	v_mul_f32_e32 v5, v2, v12
	s_delay_alu instid0(VALU_DEP_2) | instskip(NEXT) | instid1(VALU_DEP_3)
	v_add_co_u32 v7, vcc_lo, v3, v7
	v_add_co_ci_u32_e32 v8, vcc_lo, v6, v8, vcc_lo
	s_delay_alu instid0(VALU_DEP_3) | instskip(SKIP_3) | instid1(VALU_DEP_1)
	v_fmac_f32_e32 v5, v0, v11
	global_load_b64 v[9:10], v[7:8], off
	s_waitcnt vmcnt(0)
	v_dual_mul_f32 v12, v0, v12 :: v_dual_add_f32 v9, v9, v5
	v_fma_f32 v11, v2, v11, -v12
	s_delay_alu instid0(VALU_DEP_1)
	v_add_f32_e32 v10, v10, v11
	global_store_b64 v[7:8], v[9:10], off
.LBB29_12:
	s_or_b32 exec_lo, exec_lo, s0
	v_or_b32_e32 v4, 1, v4
	s_delay_alu instid0(VALU_DEP_1)
	v_cmp_gt_i32_e32 vcc_lo, s5, v4
	s_and_b32 exec_lo, exec_lo, vcc_lo
	s_cbranch_execz .LBB29_14
; %bb.13:
	v_ashrrev_i32_e32 v5, 31, v4
	v_mul_lo_u32 v9, v4, s3
	v_mad_u64_u32 v[7:8], null, v4, s2, 0
	s_delay_alu instid0(VALU_DEP_3) | instskip(NEXT) | instid1(VALU_DEP_1)
	v_mul_lo_u32 v4, v5, s2
	v_add3_u32 v8, v8, v9, v4
	s_delay_alu instid0(VALU_DEP_1)
	v_lshlrev_b64 v[4:5], 3, v[7:8]
	ds_load_b64 v[7:8], v1 offset:8
	v_add_co_u32 v3, vcc_lo, v3, v4
	v_add_co_ci_u32_e32 v4, vcc_lo, v6, v5, vcc_lo
	global_load_b64 v[5:6], v[3:4], off
	s_waitcnt lgkmcnt(0)
	v_mul_f32_e32 v1, v2, v8
	v_mul_f32_e32 v8, v0, v8
	s_delay_alu instid0(VALU_DEP_2) | instskip(NEXT) | instid1(VALU_DEP_2)
	v_fmac_f32_e32 v1, v0, v7
	v_fma_f32 v2, v2, v7, -v8
	s_waitcnt vmcnt(0)
	s_delay_alu instid0(VALU_DEP_1)
	v_dual_add_f32 v0, v5, v1 :: v_dual_add_f32 v1, v6, v2
	global_store_b64 v[3:4], v[0:1], off
.LBB29_14:
	s_nop 0
	s_sendmsg sendmsg(MSG_DEALLOC_VGPRS)
	s_endpgm
	.section	.rodata,"a",@progbits
	.p2align	6, 0x0
	.amdhsa_kernel _ZL18rocblas_ger_kernelILi32ELi32ELi2ELb1E19rocblas_complex_numIfEPKS1_S3_PS1_EviiT4_lT5_lllS6_lllT6_lmli
		.amdhsa_group_segment_fixed_size 768
		.amdhsa_private_segment_fixed_size 0
		.amdhsa_kernarg_size 124
		.amdhsa_user_sgpr_count 14
		.amdhsa_user_sgpr_dispatch_ptr 0
		.amdhsa_user_sgpr_queue_ptr 0
		.amdhsa_user_sgpr_kernarg_segment_ptr 1
		.amdhsa_user_sgpr_dispatch_id 0
		.amdhsa_user_sgpr_private_segment_size 0
		.amdhsa_wavefront_size32 1
		.amdhsa_uses_dynamic_stack 0
		.amdhsa_enable_private_segment 0
		.amdhsa_system_sgpr_workgroup_id_x 1
		.amdhsa_system_sgpr_workgroup_id_y 0
		.amdhsa_system_sgpr_workgroup_id_z 1
		.amdhsa_system_sgpr_workgroup_info 0
		.amdhsa_system_vgpr_workitem_id 1
		.amdhsa_next_free_vgpr 13
		.amdhsa_next_free_sgpr 24
		.amdhsa_reserve_vcc 1
		.amdhsa_float_round_mode_32 0
		.amdhsa_float_round_mode_16_64 0
		.amdhsa_float_denorm_mode_32 3
		.amdhsa_float_denorm_mode_16_64 3
		.amdhsa_dx10_clamp 1
		.amdhsa_ieee_mode 1
		.amdhsa_fp16_overflow 0
		.amdhsa_workgroup_processor_mode 1
		.amdhsa_memory_ordered 1
		.amdhsa_forward_progress 0
		.amdhsa_shared_vgpr_count 0
		.amdhsa_exception_fp_ieee_invalid_op 0
		.amdhsa_exception_fp_denorm_src 0
		.amdhsa_exception_fp_ieee_div_zero 0
		.amdhsa_exception_fp_ieee_overflow 0
		.amdhsa_exception_fp_ieee_underflow 0
		.amdhsa_exception_fp_ieee_inexact 0
		.amdhsa_exception_int_div_zero 0
	.end_amdhsa_kernel
	.section	.text._ZL18rocblas_ger_kernelILi32ELi32ELi2ELb1E19rocblas_complex_numIfEPKS1_S3_PS1_EviiT4_lT5_lllS6_lllT6_lmli,"axG",@progbits,_ZL18rocblas_ger_kernelILi32ELi32ELi2ELb1E19rocblas_complex_numIfEPKS1_S3_PS1_EviiT4_lT5_lllS6_lllT6_lmli,comdat
.Lfunc_end29:
	.size	_ZL18rocblas_ger_kernelILi32ELi32ELi2ELb1E19rocblas_complex_numIfEPKS1_S3_PS1_EviiT4_lT5_lllS6_lllT6_lmli, .Lfunc_end29-_ZL18rocblas_ger_kernelILi32ELi32ELi2ELb1E19rocblas_complex_numIfEPKS1_S3_PS1_EviiT4_lT5_lllS6_lllT6_lmli
                                        ; -- End function
	.section	.AMDGPU.csdata,"",@progbits
; Kernel info:
; codeLenInByte = 1176
; NumSgprs: 26
; NumVgprs: 13
; ScratchSize: 0
; MemoryBound: 0
; FloatMode: 240
; IeeeMode: 1
; LDSByteSize: 768 bytes/workgroup (compile time only)
; SGPRBlocks: 3
; VGPRBlocks: 1
; NumSGPRsForWavesPerEU: 26
; NumVGPRsForWavesPerEU: 13
; Occupancy: 16
; WaveLimiterHint : 0
; COMPUTE_PGM_RSRC2:SCRATCH_EN: 0
; COMPUTE_PGM_RSRC2:USER_SGPR: 14
; COMPUTE_PGM_RSRC2:TRAP_HANDLER: 0
; COMPUTE_PGM_RSRC2:TGID_X_EN: 1
; COMPUTE_PGM_RSRC2:TGID_Y_EN: 0
; COMPUTE_PGM_RSRC2:TGID_Z_EN: 1
; COMPUTE_PGM_RSRC2:TIDIG_COMP_CNT: 1
	.section	.text._ZL18rocblas_ger_kernelILi32ELi32ELi2ELb1E19rocblas_complex_numIfES1_PKS1_PS1_EviiT4_lT5_lllS6_lllT6_lmli,"axG",@progbits,_ZL18rocblas_ger_kernelILi32ELi32ELi2ELb1E19rocblas_complex_numIfES1_PKS1_PS1_EviiT4_lT5_lllS6_lllT6_lmli,comdat
	.globl	_ZL18rocblas_ger_kernelILi32ELi32ELi2ELb1E19rocblas_complex_numIfES1_PKS1_PS1_EviiT4_lT5_lllS6_lllT6_lmli ; -- Begin function _ZL18rocblas_ger_kernelILi32ELi32ELi2ELb1E19rocblas_complex_numIfES1_PKS1_PS1_EviiT4_lT5_lllS6_lllT6_lmli
	.p2align	8
	.type	_ZL18rocblas_ger_kernelILi32ELi32ELi2ELb1E19rocblas_complex_numIfES1_PKS1_PS1_EviiT4_lT5_lllS6_lllT6_lmli,@function
_ZL18rocblas_ger_kernelILi32ELi32ELi2ELb1E19rocblas_complex_numIfES1_PKS1_PS1_EviiT4_lT5_lllS6_lllT6_lmli: ; @_ZL18rocblas_ger_kernelILi32ELi32ELi2ELb1E19rocblas_complex_numIfES1_PKS1_PS1_EviiT4_lT5_lllS6_lllT6_lmli
; %bb.0:
	s_load_b128 s[4:7], s[0:1], 0x0
	s_waitcnt lgkmcnt(0)
	s_add_i32 s2, s4, -1
	s_or_b32 s8, s6, s7
	s_ashr_i32 s3, s2, 31
	s_bitset0_b32 s8, 31
	s_lshr_b32 s3, s3, 27
	s_delay_alu instid0(SALU_CYCLE_1) | instskip(NEXT) | instid1(SALU_CYCLE_1)
	s_add_i32 s2, s2, s3
	s_ashr_i32 s2, s2, 5
	s_delay_alu instid0(SALU_CYCLE_1) | instskip(SKIP_2) | instid1(VALU_DEP_1)
	s_add_i32 s11, s2, 1
	s_cmp_eq_u32 s8, 0
	v_cvt_f32_u32_e32 v1, s11
	v_rcp_iflag_f32_e32 v1, v1
	s_waitcnt_depctr 0xfff
	v_mul_f32_e32 v1, 0x4f7ffffe, v1
	s_delay_alu instid0(VALU_DEP_1) | instskip(NEXT) | instid1(VALU_DEP_1)
	v_cvt_u32_f32_e32 v1, v1
	v_readfirstlane_b32 s3, v1
	s_cbranch_scc1 .LBB30_14
; %bb.1:
	s_not_b32 s2, s2
	v_and_b32_e32 v3, 0x3ff, v0
	s_delay_alu instid0(VALU_DEP_2) | instskip(SKIP_2) | instid1(SALU_CYCLE_1)
	s_mul_i32 s2, s2, s3
	v_bfe_u32 v4, v0, 10, 10
	s_mul_hi_u32 s2, s3, s2
	s_add_i32 s3, s3, s2
	s_delay_alu instid0(SALU_CYCLE_1)
	s_mul_hi_u32 s10, s14, s3
	s_clause 0x1
	s_load_b64 s[8:9], s[0:1], 0x58
	s_load_b64 s[2:3], s[0:1], 0x38
	s_mul_i32 s12, s10, s11
	s_add_i32 s13, s10, 1
	s_sub_i32 s12, s14, s12
	s_delay_alu instid0(SALU_CYCLE_1)
	s_sub_i32 s16, s12, s11
	s_cmp_ge_u32 s12, s11
	s_cselect_b32 s10, s13, s10
	s_cselect_b32 s12, s16, s12
	s_add_i32 s13, s10, 1
	s_cmp_ge_u32 s12, s11
	s_cselect_b32 s10, s13, s10
	s_delay_alu instid0(SALU_CYCLE_1) | instskip(NEXT) | instid1(SALU_CYCLE_1)
	s_mul_i32 s11, s10, s11
	s_sub_i32 s11, s14, s11
	s_delay_alu instid0(SALU_CYCLE_1)
	v_lshl_add_u32 v0, s11, 5, v3
	s_mov_b32 s11, exec_lo
	v_cmpx_eq_u32_e32 0, v4
	s_cbranch_execz .LBB30_5
; %bb.2:
	v_dual_mov_b32 v1, 0 :: v_dual_mov_b32 v2, 0
	s_mov_b32 s12, exec_lo
	v_cmpx_gt_i32_e64 s4, v0
	s_cbranch_execz .LBB30_4
; %bb.3:
	s_clause 0x2
	s_load_b128 s[16:19], s[0:1], 0x20
	s_load_b64 s[20:21], s[0:1], 0x30
	s_load_b64 s[22:23], s[0:1], 0x18
	v_ashrrev_i32_e32 v1, 31, v0
	s_waitcnt lgkmcnt(0)
	v_mul_lo_u32 v5, v0, s19
	s_delay_alu instid0(VALU_DEP_2)
	v_mul_lo_u32 v6, v1, s18
	v_mad_u64_u32 v[1:2], null, v0, s18, 0
	s_mul_i32 s13, s15, s21
	s_mul_hi_u32 s14, s15, s20
	s_mul_i32 s18, s15, s20
	s_add_i32 s19, s14, s13
	s_delay_alu instid0(SALU_CYCLE_1) | instskip(NEXT) | instid1(VALU_DEP_1)
	s_lshl_b64 s[18:19], s[18:19], 3
	v_add3_u32 v2, v2, v5, v6
	s_add_u32 s13, s22, s18
	s_addc_u32 s14, s23, s19
	s_lshl_b64 s[16:17], s[16:17], 3
	s_delay_alu instid0(VALU_DEP_1) | instskip(SKIP_2) | instid1(VALU_DEP_1)
	v_lshlrev_b64 v[1:2], 3, v[1:2]
	s_add_u32 s13, s13, s16
	s_addc_u32 s14, s14, s17
	v_add_co_u32 v1, vcc_lo, s13, v1
	s_delay_alu instid0(VALU_DEP_2)
	v_add_co_ci_u32_e32 v2, vcc_lo, s14, v2, vcc_lo
	global_load_b64 v[1:2], v[1:2], off
.LBB30_4:
	s_or_b32 exec_lo, exec_lo, s12
	v_lshlrev_b32_e32 v5, 3, v3
	s_waitcnt vmcnt(0)
	ds_store_b64 v5, v[1:2] offset:512
.LBB30_5:
	s_or_b32 exec_lo, exec_lo, s11
	v_lshlrev_b32_e32 v5, 1, v4
	s_delay_alu instid0(VALU_DEP_1)
	v_lshl_add_u32 v4, s10, 6, v5
	s_mov_b32 s10, exec_lo
	v_cmpx_gt_u32_e32 2, v3
	s_cbranch_execz .LBB30_9
; %bb.6:
	s_delay_alu instid0(VALU_DEP_2) | instskip(SKIP_2) | instid1(VALU_DEP_2)
	v_or_b32_e32 v6, v4, v3
	v_dual_mov_b32 v1, 0 :: v_dual_mov_b32 v2, 0
	s_mov_b32 s11, exec_lo
	v_cmpx_gt_u32_e64 s5, v6
	s_cbranch_execz .LBB30_8
; %bb.7:
	s_clause 0x1
	s_load_b128 s[16:19], s[0:1], 0x40
	s_load_b64 s[12:13], s[0:1], 0x50
	s_waitcnt lgkmcnt(0)
	v_mad_u64_u32 v[1:2], null, v6, s18, 0
	s_mul_i32 s13, s15, s13
	s_mul_hi_u32 s14, s15, s12
	s_mul_i32 s12, s15, s12
	s_add_i32 s13, s14, s13
	s_delay_alu instid0(SALU_CYCLE_1) | instskip(NEXT) | instid1(VALU_DEP_1)
	s_lshl_b64 s[12:13], s[12:13], 3
	v_mad_u64_u32 v[7:8], null, v6, s19, v[2:3]
	s_add_u32 s12, s2, s12
	s_addc_u32 s13, s3, s13
	s_lshl_b64 s[2:3], s[16:17], 3
	s_delay_alu instid0(SALU_CYCLE_1) | instskip(SKIP_1) | instid1(VALU_DEP_1)
	s_add_u32 s2, s12, s2
	s_addc_u32 s3, s13, s3
	v_mov_b32_e32 v2, v7
	s_delay_alu instid0(VALU_DEP_1) | instskip(NEXT) | instid1(VALU_DEP_1)
	v_lshlrev_b64 v[1:2], 3, v[1:2]
	v_add_co_u32 v1, vcc_lo, s2, v1
	s_delay_alu instid0(VALU_DEP_2)
	v_add_co_ci_u32_e32 v2, vcc_lo, s3, v2, vcc_lo
	global_load_b64 v[1:2], v[1:2], off
.LBB30_8:
	s_or_b32 exec_lo, exec_lo, s11
	v_or_b32_e32 v6, v5, v3
	s_delay_alu instid0(VALU_DEP_1)
	v_lshlrev_b32_e32 v6, 3, v6
	s_waitcnt vmcnt(0)
	ds_store_b64 v6, v[1:2]
.LBB30_9:
	s_or_b32 exec_lo, exec_lo, s10
	s_waitcnt lgkmcnt(0)
	s_barrier
	buffer_gl0_inv
	s_mov_b32 s2, exec_lo
	v_cmpx_gt_i32_e64 s4, v0
	s_cbranch_execz .LBB30_14
; %bb.10:
	s_load_b64 s[10:11], s[0:1], 0x70
	v_lshlrev_b32_e32 v1, 3, v3
	s_load_b128 s[0:3], s[0:1], 0x60
	ds_load_b64 v[6:7], v1 offset:512
	v_ashrrev_i32_e32 v1, 31, v0
	s_waitcnt lgkmcnt(0)
	s_mul_i32 s4, s15, s11
	s_mul_hi_u32 s11, s15, s10
	s_mul_i32 s10, s15, s10
	s_add_i32 s11, s11, s4
	s_delay_alu instid0(SALU_CYCLE_1)
	s_lshl_b64 s[10:11], s[10:11], 3
	v_mul_f32_e32 v3, s7, v7
	v_mul_f32_e32 v2, s6, v7
	v_lshlrev_b64 v[7:8], 3, v[0:1]
	v_lshlrev_b32_e32 v1, 3, v5
	s_add_u32 s4, s8, s10
	s_addc_u32 s8, s9, s11
	s_lshl_b64 s[0:1], s[0:1], 3
	v_fma_f32 v0, v6, s6, -v3
	s_add_u32 s0, s4, s0
	s_addc_u32 s1, s8, s1
	v_add_co_u32 v3, s0, s0, v7
	v_fmac_f32_e32 v2, s7, v6
	v_add_co_ci_u32_e64 v6, s0, s1, v8, s0
	s_mov_b32 s0, exec_lo
	v_cmpx_gt_i32_e64 s5, v4
	s_cbranch_execz .LBB30_12
; %bb.11:
	v_ashrrev_i32_e32 v5, 31, v4
	v_mul_lo_u32 v9, v4, s3
	v_mad_u64_u32 v[7:8], null, v4, s2, 0
	ds_load_b64 v[11:12], v1
	v_mul_lo_u32 v5, v5, s2
	s_delay_alu instid0(VALU_DEP_1) | instskip(NEXT) | instid1(VALU_DEP_1)
	v_add3_u32 v8, v8, v9, v5
	v_lshlrev_b64 v[7:8], 3, v[7:8]
	s_waitcnt lgkmcnt(0)
	v_mul_f32_e32 v5, v2, v12
	s_delay_alu instid0(VALU_DEP_2) | instskip(NEXT) | instid1(VALU_DEP_3)
	v_add_co_u32 v7, vcc_lo, v3, v7
	v_add_co_ci_u32_e32 v8, vcc_lo, v6, v8, vcc_lo
	s_delay_alu instid0(VALU_DEP_3) | instskip(SKIP_3) | instid1(VALU_DEP_1)
	v_fmac_f32_e32 v5, v0, v11
	global_load_b64 v[9:10], v[7:8], off
	s_waitcnt vmcnt(0)
	v_dual_mul_f32 v12, v0, v12 :: v_dual_add_f32 v9, v9, v5
	v_fma_f32 v11, v2, v11, -v12
	s_delay_alu instid0(VALU_DEP_1)
	v_add_f32_e32 v10, v10, v11
	global_store_b64 v[7:8], v[9:10], off
.LBB30_12:
	s_or_b32 exec_lo, exec_lo, s0
	v_or_b32_e32 v4, 1, v4
	s_delay_alu instid0(VALU_DEP_1)
	v_cmp_gt_i32_e32 vcc_lo, s5, v4
	s_and_b32 exec_lo, exec_lo, vcc_lo
	s_cbranch_execz .LBB30_14
; %bb.13:
	v_ashrrev_i32_e32 v5, 31, v4
	v_mul_lo_u32 v9, v4, s3
	v_mad_u64_u32 v[7:8], null, v4, s2, 0
	s_delay_alu instid0(VALU_DEP_3) | instskip(NEXT) | instid1(VALU_DEP_1)
	v_mul_lo_u32 v4, v5, s2
	v_add3_u32 v8, v8, v9, v4
	s_delay_alu instid0(VALU_DEP_1)
	v_lshlrev_b64 v[4:5], 3, v[7:8]
	ds_load_b64 v[7:8], v1 offset:8
	v_add_co_u32 v3, vcc_lo, v3, v4
	v_add_co_ci_u32_e32 v4, vcc_lo, v6, v5, vcc_lo
	global_load_b64 v[5:6], v[3:4], off
	s_waitcnt lgkmcnt(0)
	v_mul_f32_e32 v1, v2, v8
	v_mul_f32_e32 v8, v0, v8
	s_delay_alu instid0(VALU_DEP_2) | instskip(NEXT) | instid1(VALU_DEP_2)
	v_fmac_f32_e32 v1, v0, v7
	v_fma_f32 v2, v2, v7, -v8
	s_waitcnt vmcnt(0)
	s_delay_alu instid0(VALU_DEP_1)
	v_dual_add_f32 v0, v5, v1 :: v_dual_add_f32 v1, v6, v2
	global_store_b64 v[3:4], v[0:1], off
.LBB30_14:
	s_nop 0
	s_sendmsg sendmsg(MSG_DEALLOC_VGPRS)
	s_endpgm
	.section	.rodata,"a",@progbits
	.p2align	6, 0x0
	.amdhsa_kernel _ZL18rocblas_ger_kernelILi32ELi32ELi2ELb1E19rocblas_complex_numIfES1_PKS1_PS1_EviiT4_lT5_lllS6_lllT6_lmli
		.amdhsa_group_segment_fixed_size 768
		.amdhsa_private_segment_fixed_size 0
		.amdhsa_kernarg_size 124
		.amdhsa_user_sgpr_count 14
		.amdhsa_user_sgpr_dispatch_ptr 0
		.amdhsa_user_sgpr_queue_ptr 0
		.amdhsa_user_sgpr_kernarg_segment_ptr 1
		.amdhsa_user_sgpr_dispatch_id 0
		.amdhsa_user_sgpr_private_segment_size 0
		.amdhsa_wavefront_size32 1
		.amdhsa_uses_dynamic_stack 0
		.amdhsa_enable_private_segment 0
		.amdhsa_system_sgpr_workgroup_id_x 1
		.amdhsa_system_sgpr_workgroup_id_y 0
		.amdhsa_system_sgpr_workgroup_id_z 1
		.amdhsa_system_sgpr_workgroup_info 0
		.amdhsa_system_vgpr_workitem_id 1
		.amdhsa_next_free_vgpr 13
		.amdhsa_next_free_sgpr 24
		.amdhsa_reserve_vcc 1
		.amdhsa_float_round_mode_32 0
		.amdhsa_float_round_mode_16_64 0
		.amdhsa_float_denorm_mode_32 3
		.amdhsa_float_denorm_mode_16_64 3
		.amdhsa_dx10_clamp 1
		.amdhsa_ieee_mode 1
		.amdhsa_fp16_overflow 0
		.amdhsa_workgroup_processor_mode 1
		.amdhsa_memory_ordered 1
		.amdhsa_forward_progress 0
		.amdhsa_shared_vgpr_count 0
		.amdhsa_exception_fp_ieee_invalid_op 0
		.amdhsa_exception_fp_denorm_src 0
		.amdhsa_exception_fp_ieee_div_zero 0
		.amdhsa_exception_fp_ieee_overflow 0
		.amdhsa_exception_fp_ieee_underflow 0
		.amdhsa_exception_fp_ieee_inexact 0
		.amdhsa_exception_int_div_zero 0
	.end_amdhsa_kernel
	.section	.text._ZL18rocblas_ger_kernelILi32ELi32ELi2ELb1E19rocblas_complex_numIfES1_PKS1_PS1_EviiT4_lT5_lllS6_lllT6_lmli,"axG",@progbits,_ZL18rocblas_ger_kernelILi32ELi32ELi2ELb1E19rocblas_complex_numIfES1_PKS1_PS1_EviiT4_lT5_lllS6_lllT6_lmli,comdat
.Lfunc_end30:
	.size	_ZL18rocblas_ger_kernelILi32ELi32ELi2ELb1E19rocblas_complex_numIfES1_PKS1_PS1_EviiT4_lT5_lllS6_lllT6_lmli, .Lfunc_end30-_ZL18rocblas_ger_kernelILi32ELi32ELi2ELb1E19rocblas_complex_numIfES1_PKS1_PS1_EviiT4_lT5_lllS6_lllT6_lmli
                                        ; -- End function
	.section	.AMDGPU.csdata,"",@progbits
; Kernel info:
; codeLenInByte = 1132
; NumSgprs: 26
; NumVgprs: 13
; ScratchSize: 0
; MemoryBound: 0
; FloatMode: 240
; IeeeMode: 1
; LDSByteSize: 768 bytes/workgroup (compile time only)
; SGPRBlocks: 3
; VGPRBlocks: 1
; NumSGPRsForWavesPerEU: 26
; NumVGPRsForWavesPerEU: 13
; Occupancy: 16
; WaveLimiterHint : 0
; COMPUTE_PGM_RSRC2:SCRATCH_EN: 0
; COMPUTE_PGM_RSRC2:USER_SGPR: 14
; COMPUTE_PGM_RSRC2:TRAP_HANDLER: 0
; COMPUTE_PGM_RSRC2:TGID_X_EN: 1
; COMPUTE_PGM_RSRC2:TGID_Y_EN: 0
; COMPUTE_PGM_RSRC2:TGID_Z_EN: 1
; COMPUTE_PGM_RSRC2:TIDIG_COMP_CNT: 1
	.section	.text._ZL34rocblas_ger_double_buffered_kernelILb1ELi64ELi16ELi2E19rocblas_complex_numIdE24rocblas_internal_val_ptrIS1_EPKS1_PS1_EvbiiT4_lT5_lllS8_lllT6_lmli,"axG",@progbits,_ZL34rocblas_ger_double_buffered_kernelILb1ELi64ELi16ELi2E19rocblas_complex_numIdE24rocblas_internal_val_ptrIS1_EPKS1_PS1_EvbiiT4_lT5_lllS8_lllT6_lmli,comdat
	.globl	_ZL34rocblas_ger_double_buffered_kernelILb1ELi64ELi16ELi2E19rocblas_complex_numIdE24rocblas_internal_val_ptrIS1_EPKS1_PS1_EvbiiT4_lT5_lllS8_lllT6_lmli ; -- Begin function _ZL34rocblas_ger_double_buffered_kernelILb1ELi64ELi16ELi2E19rocblas_complex_numIdE24rocblas_internal_val_ptrIS1_EPKS1_PS1_EvbiiT4_lT5_lllS8_lllT6_lmli
	.p2align	8
	.type	_ZL34rocblas_ger_double_buffered_kernelILb1ELi64ELi16ELi2E19rocblas_complex_numIdE24rocblas_internal_val_ptrIS1_EPKS1_PS1_EvbiiT4_lT5_lllS8_lllT6_lmli,@function
_ZL34rocblas_ger_double_buffered_kernelILb1ELi64ELi16ELi2E19rocblas_complex_numIdE24rocblas_internal_val_ptrIS1_EPKS1_PS1_EvbiiT4_lT5_lllS8_lllT6_lmli: ; @_ZL34rocblas_ger_double_buffered_kernelILb1ELi64ELi16ELi2E19rocblas_complex_numIdE24rocblas_internal_val_ptrIS1_EPKS1_PS1_EvbiiT4_lT5_lllS8_lllT6_lmli
; %bb.0:
	s_clause 0x1
	s_load_b32 s4, s[0:1], 0x0
	s_load_b64 s[2:3], s[0:1], 0x10
	s_mov_b32 s12, 0
	s_waitcnt lgkmcnt(0)
	s_bitcmp0_b32 s4, 0
	s_cbranch_scc0 .LBB31_2
; %bb.1:
	s_load_b64 s[4:5], s[0:1], 0x20
	s_waitcnt lgkmcnt(0)
	s_mul_i32 s5, s15, s5
	s_mul_hi_u32 s6, s15, s4
	s_mul_i32 s4, s15, s4
	s_add_i32 s5, s6, s5
	s_delay_alu instid0(SALU_CYCLE_1) | instskip(NEXT) | instid1(SALU_CYCLE_1)
	s_lshl_b64 s[4:5], s[4:5], 4
	s_add_u32 s4, s2, s4
	s_addc_u32 s5, s3, s5
	s_load_b128 s[24:27], s[4:5], 0x0
	s_and_not1_b32 vcc_lo, exec_lo, s12
	s_cbranch_vccz .LBB31_3
	s_branch .LBB31_4
.LBB31_2:
	s_mov_b32 s12, -1
                                        ; implicit-def: $sgpr26_sgpr27
.LBB31_3:
	s_waitcnt lgkmcnt(0)
	s_load_b64 s[26:27], s[0:1], 0x18
	s_mov_b32 s12, 0
	s_mov_b64 s[24:25], s[2:3]
.LBB31_4:
	s_waitcnt lgkmcnt(0)
	v_cmp_neq_f64_e64 s2, s[24:25], 0
	v_cmp_neq_f64_e64 s3, s[26:27], 0
	s_delay_alu instid0(VALU_DEP_1) | instskip(NEXT) | instid1(SALU_CYCLE_1)
	s_or_b32 s2, s2, s3
	s_and_not1_b32 vcc_lo, exec_lo, s2
	s_cbranch_vccnz .LBB31_6
; %bb.5:
	s_clause 0x4
	s_load_b64 s[30:31], s[0:1], 0x80
	s_load_b256 s[4:11], s[0:1], 0x60
	s_load_b256 s[16:23], s[0:1], 0x40
	s_load_b64 s[28:29], s[0:1], 0x28
	s_load_b128 s[0:3], s[0:1], 0x30
	v_and_b32_e32 v9, 0x3ff, v0
	v_bfe_u32 v0, v0, 10, 10
	s_delay_alu instid0(VALU_DEP_2) | instskip(NEXT) | instid1(VALU_DEP_1)
	v_and_b32_e32 v20, 31, v9
	v_or_b32_e32 v8, 32, v20
	s_waitcnt lgkmcnt(0)
	s_mul_i32 s31, s15, s31
	s_mul_hi_u32 s33, s15, s30
	s_mul_i32 s34, s12, s30
	s_add_i32 s31, s33, s31
	s_mul_i32 s30, s15, s30
	s_add_i32 s31, s31, s34
	s_mul_i32 s5, s15, s5
	s_lshl_b64 s[30:31], s[30:31], 4
	s_mul_hi_u32 s33, s15, s4
	s_add_u32 s30, s6, s30
	s_addc_u32 s31, s7, s31
	s_lshl_b64 s[6:7], s[8:9], 4
	s_mul_i32 s8, s12, s4
	s_add_u32 s9, s30, s6
	s_addc_u32 s30, s31, s7
	s_add_i32 s5, s33, s5
	s_mul_i32 s4, s15, s4
	s_add_i32 s5, s5, s8
	s_mul_i32 s6, s15, s17
	s_lshl_b64 s[4:5], s[4:5], 4
	s_mul_hi_u32 s7, s15, s16
	s_add_u32 s8, s18, s4
	s_addc_u32 s17, s19, s5
	s_lshl_b64 s[4:5], s[20:21], 4
	s_mul_i32 s12, s12, s16
	s_add_u32 s4, s8, s4
	s_addc_u32 s5, s17, s5
	s_add_i32 s7, s7, s6
	s_mul_i32 s6, s15, s16
	s_add_i32 s7, s7, s12
	v_mad_u64_u32 v[1:2], null, v20, s2, 0
	s_lshl_b64 s[6:7], s[6:7], 4
	v_mad_u64_u32 v[3:4], null, v8, s2, 0
	s_add_u32 s6, s28, s6
	s_addc_u32 s7, s29, s7
	s_lshl_b64 s[0:1], s[0:1], 4
	s_delay_alu instid0(SALU_CYCLE_1) | instskip(SKIP_2) | instid1(VALU_DEP_1)
	s_add_u32 s8, s6, s0
	s_addc_u32 s12, s7, s1
	s_lshl_b32 s0, s13, 6
	v_mad_u64_u32 v[5:6], null, v20, s3, v[2:3]
	s_ashr_i32 s1, s0, 31
	s_mul_hi_u32 s17, s0, s2
	s_lshl_b64 s[6:7], s[0:1], 4
	s_mul_i32 s1, s1, s2
	s_add_u32 s9, s9, s6
	s_addc_u32 s13, s30, s7
	s_delay_alu instid0(VALU_DEP_1)
	v_mov_b32_e32 v2, v5
	s_lshl_b32 s14, s14, 6
	v_mad_u64_u32 v[6:7], null, v8, s3, v[4:5]
	s_mul_i32 s6, s14, s11
	s_mul_hi_u32 s7, s14, s10
	s_ashr_i32 s15, s14, 31
	s_add_i32 s7, s7, s6
	s_mul_i32 s16, s15, s10
	s_mul_i32 s6, s14, s10
	s_add_i32 s7, s7, s16
	v_lshl_add_u32 v0, v0, 6, v9
	s_lshl_b64 s[6:7], s[6:7], 4
	s_mul_i32 s16, s0, s3
	s_add_u32 s6, s9, s6
	s_addc_u32 s7, s13, s7
	s_add_i32 s9, s17, s16
	v_lshrrev_b32_e32 v0, 4, v0
	v_mov_b32_e32 v4, v6
	s_add_i32 s1, s9, s1
	s_mul_i32 s0, s0, s2
	v_lshlrev_b64 v[1:2], 4, v[1:2]
	v_and_b32_e32 v21, 0x1ffe, v0
	s_lshl_b64 s[0:1], s[0:1], 4
	v_lshlrev_b64 v[3:4], 4, v[3:4]
	s_add_u32 s0, s8, s0
	s_addc_u32 s1, s12, s1
	v_add_co_u32 v1, vcc_lo, s0, v1
	v_add_co_ci_u32_e32 v2, vcc_lo, s1, v2, vcc_lo
	s_delay_alu instid0(VALU_DEP_3)
	v_add_co_u32 v5, vcc_lo, s0, v3
	v_add_co_ci_u32_e32 v6, vcc_lo, s1, v4, vcc_lo
	s_clause 0x1
	global_load_b128 v[1:4], v[1:2], off
	global_load_b128 v[5:8], v[5:6], off
	v_or_b32_e32 v15, 1, v0
	v_mad_u64_u32 v[9:10], null, v21, s22, 0
	s_mul_i32 s0, s14, s23
	s_mul_hi_u32 s1, s14, s22
	s_delay_alu instid0(VALU_DEP_2) | instskip(SKIP_2) | instid1(VALU_DEP_2)
	v_mad_u64_u32 v[11:12], null, v15, s22, 0
	s_mul_i32 s15, s15, s22
	s_add_i32 s1, s1, s0
	v_mov_b32_e32 v0, v10
	s_mul_i32 s0, s14, s22
	s_add_i32 s1, s1, s15
	s_lshl_b64 s[2:3], s[10:11], 4
	s_delay_alu instid0(VALU_DEP_2)
	v_mov_b32_e32 v10, v12
	s_lshl_b64 s[0:1], s[0:1], 4
	v_mad_u64_u32 v[17:18], null, v21, s10, 0
	s_add_u32 s0, s4, s0
	s_addc_u32 s1, s5, s1
	s_waitcnt vmcnt(1)
	v_mad_u64_u32 v[12:13], null, v21, s23, v[0:1]
	v_mad_u64_u32 v[13:14], null, v15, s23, v[10:11]
	s_delay_alu instid0(VALU_DEP_3)
	v_mov_b32_e32 v0, v18
	v_mul_f64 v[37:38], s[24:25], v[3:4]
	v_mul_f64 v[3:4], s[26:27], v[3:4]
	s_waitcnt vmcnt(0)
	v_mul_f64 v[39:40], s[24:25], v[7:8]
	v_mov_b32_e32 v10, v12
	v_mad_u64_u32 v[18:19], null, v21, s11, v[0:1]
	v_mov_b32_e32 v12, v13
	v_lshlrev_b32_e32 v0, 4, v20
	s_delay_alu instid0(VALU_DEP_4) | instskip(SKIP_1) | instid1(VALU_DEP_4)
	v_lshlrev_b64 v[9:10], 4, v[9:10]
	v_mul_f64 v[7:8], s[26:27], v[7:8]
	v_lshlrev_b64 v[11:12], 4, v[11:12]
	v_lshlrev_b64 v[17:18], 4, v[17:18]
	s_delay_alu instid0(VALU_DEP_4) | instskip(SKIP_1) | instid1(VALU_DEP_4)
	v_add_co_u32 v9, vcc_lo, s0, v9
	v_add_co_ci_u32_e32 v10, vcc_lo, s1, v10, vcc_lo
	v_add_co_u32 v13, vcc_lo, s0, v11
	v_add_co_ci_u32_e32 v14, vcc_lo, s1, v12, vcc_lo
	s_clause 0x1
	global_load_b128 v[9:12], v[9:10], off
	global_load_b128 v[13:16], v[13:14], off
	v_add_co_u32 v17, vcc_lo, s6, v17
	v_add_co_ci_u32_e32 v18, vcc_lo, s7, v18, vcc_lo
	s_delay_alu instid0(VALU_DEP_2) | instskip(NEXT) | instid1(VALU_DEP_2)
	v_add_co_u32 v33, vcc_lo, v17, v0
	v_add_co_ci_u32_e32 v34, vcc_lo, 0, v18, vcc_lo
	s_delay_alu instid0(VALU_DEP_2) | instskip(NEXT) | instid1(VALU_DEP_2)
	v_add_co_u32 v35, vcc_lo, v33, s2
	v_add_co_ci_u32_e32 v36, vcc_lo, s3, v34, vcc_lo
	global_load_b128 v[17:20], v[33:34], off
	s_clause 0x1
	global_load_b128 v[21:24], v[35:36], off
	global_load_b128 v[25:28], v[33:34], off offset:512
	global_load_b128 v[29:32], v[35:36], off offset:512
	v_fma_f64 v[37:38], s[26:27], v[1:2], v[37:38]
	v_fma_f64 v[0:1], s[24:25], v[1:2], -v[3:4]
	v_fma_f64 v[2:3], s[26:27], v[5:6], v[39:40]
	v_fma_f64 v[4:5], s[24:25], v[5:6], -v[7:8]
	s_waitcnt vmcnt(5)
	s_delay_alu instid0(VALU_DEP_4) | instskip(NEXT) | instid1(VALU_DEP_4)
	v_mul_f64 v[6:7], v[37:38], v[11:12]
	v_mul_f64 v[39:40], v[0:1], v[11:12]
	s_waitcnt vmcnt(4)
	v_mul_f64 v[41:42], v[37:38], v[15:16]
	v_mul_f64 v[43:44], v[0:1], v[15:16]
	;; [unrolled: 1-line block ×6, first 2 shown]
	v_fma_f64 v[6:7], v[0:1], v[9:10], v[6:7]
	v_fma_f64 v[39:40], v[37:38], v[9:10], -v[39:40]
	v_fma_f64 v[41:42], v[0:1], v[13:14], v[41:42]
	v_fma_f64 v[37:38], v[37:38], v[13:14], -v[43:44]
	;; [unrolled: 2-line block ×4, first 2 shown]
	s_waitcnt vmcnt(3)
	v_add_f64 v[0:1], v[17:18], v[6:7]
	v_add_f64 v[2:3], v[19:20], v[39:40]
	s_waitcnt vmcnt(2)
	v_add_f64 v[4:5], v[21:22], v[41:42]
	v_add_f64 v[6:7], v[23:24], v[37:38]
	;; [unrolled: 3-line block ×4, first 2 shown]
	global_store_b128 v[33:34], v[0:3], off
	s_clause 0x1
	global_store_b128 v[35:36], v[4:7], off
	global_store_b128 v[33:34], v[8:11], off offset:512
	global_store_b128 v[35:36], v[12:15], off offset:512
.LBB31_6:
	s_nop 0
	s_sendmsg sendmsg(MSG_DEALLOC_VGPRS)
	s_endpgm
	.section	.rodata,"a",@progbits
	.p2align	6, 0x0
	.amdhsa_kernel _ZL34rocblas_ger_double_buffered_kernelILb1ELi64ELi16ELi2E19rocblas_complex_numIdE24rocblas_internal_val_ptrIS1_EPKS1_PS1_EvbiiT4_lT5_lllS8_lllT6_lmli
		.amdhsa_group_segment_fixed_size 0
		.amdhsa_private_segment_fixed_size 0
		.amdhsa_kernarg_size 140
		.amdhsa_user_sgpr_count 13
		.amdhsa_user_sgpr_dispatch_ptr 0
		.amdhsa_user_sgpr_queue_ptr 0
		.amdhsa_user_sgpr_kernarg_segment_ptr 1
		.amdhsa_user_sgpr_dispatch_id 0
		.amdhsa_user_sgpr_private_segment_size 0
		.amdhsa_wavefront_size32 1
		.amdhsa_uses_dynamic_stack 0
		.amdhsa_enable_private_segment 0
		.amdhsa_system_sgpr_workgroup_id_x 1
		.amdhsa_system_sgpr_workgroup_id_y 1
		.amdhsa_system_sgpr_workgroup_id_z 1
		.amdhsa_system_sgpr_workgroup_info 0
		.amdhsa_system_vgpr_workitem_id 1
		.amdhsa_next_free_vgpr 49
		.amdhsa_next_free_sgpr 35
		.amdhsa_reserve_vcc 1
		.amdhsa_float_round_mode_32 0
		.amdhsa_float_round_mode_16_64 0
		.amdhsa_float_denorm_mode_32 3
		.amdhsa_float_denorm_mode_16_64 3
		.amdhsa_dx10_clamp 1
		.amdhsa_ieee_mode 1
		.amdhsa_fp16_overflow 0
		.amdhsa_workgroup_processor_mode 1
		.amdhsa_memory_ordered 1
		.amdhsa_forward_progress 0
		.amdhsa_shared_vgpr_count 0
		.amdhsa_exception_fp_ieee_invalid_op 0
		.amdhsa_exception_fp_denorm_src 0
		.amdhsa_exception_fp_ieee_div_zero 0
		.amdhsa_exception_fp_ieee_overflow 0
		.amdhsa_exception_fp_ieee_underflow 0
		.amdhsa_exception_fp_ieee_inexact 0
		.amdhsa_exception_int_div_zero 0
	.end_amdhsa_kernel
	.section	.text._ZL34rocblas_ger_double_buffered_kernelILb1ELi64ELi16ELi2E19rocblas_complex_numIdE24rocblas_internal_val_ptrIS1_EPKS1_PS1_EvbiiT4_lT5_lllS8_lllT6_lmli,"axG",@progbits,_ZL34rocblas_ger_double_buffered_kernelILb1ELi64ELi16ELi2E19rocblas_complex_numIdE24rocblas_internal_val_ptrIS1_EPKS1_PS1_EvbiiT4_lT5_lllS8_lllT6_lmli,comdat
.Lfunc_end31:
	.size	_ZL34rocblas_ger_double_buffered_kernelILb1ELi64ELi16ELi2E19rocblas_complex_numIdE24rocblas_internal_val_ptrIS1_EPKS1_PS1_EvbiiT4_lT5_lllS8_lllT6_lmli, .Lfunc_end31-_ZL34rocblas_ger_double_buffered_kernelILb1ELi64ELi16ELi2E19rocblas_complex_numIdE24rocblas_internal_val_ptrIS1_EPKS1_PS1_EvbiiT4_lT5_lllS8_lllT6_lmli
                                        ; -- End function
	.section	.AMDGPU.csdata,"",@progbits
; Kernel info:
; codeLenInByte = 1236
; NumSgprs: 37
; NumVgprs: 49
; ScratchSize: 0
; MemoryBound: 0
; FloatMode: 240
; IeeeMode: 1
; LDSByteSize: 0 bytes/workgroup (compile time only)
; SGPRBlocks: 4
; VGPRBlocks: 6
; NumSGPRsForWavesPerEU: 37
; NumVGPRsForWavesPerEU: 49
; Occupancy: 16
; WaveLimiterHint : 0
; COMPUTE_PGM_RSRC2:SCRATCH_EN: 0
; COMPUTE_PGM_RSRC2:USER_SGPR: 13
; COMPUTE_PGM_RSRC2:TRAP_HANDLER: 0
; COMPUTE_PGM_RSRC2:TGID_X_EN: 1
; COMPUTE_PGM_RSRC2:TGID_Y_EN: 1
; COMPUTE_PGM_RSRC2:TGID_Z_EN: 1
; COMPUTE_PGM_RSRC2:TIDIG_COMP_CNT: 1
	.section	.text._ZL18rocblas_ger_kernelILi32ELi32ELi2ELb1E19rocblas_complex_numIdEPKS1_S3_PS1_EviiT4_lT5_lllS6_lllT6_lmli,"axG",@progbits,_ZL18rocblas_ger_kernelILi32ELi32ELi2ELb1E19rocblas_complex_numIdEPKS1_S3_PS1_EviiT4_lT5_lllS6_lllT6_lmli,comdat
	.globl	_ZL18rocblas_ger_kernelILi32ELi32ELi2ELb1E19rocblas_complex_numIdEPKS1_S3_PS1_EviiT4_lT5_lllS6_lllT6_lmli ; -- Begin function _ZL18rocblas_ger_kernelILi32ELi32ELi2ELb1E19rocblas_complex_numIdEPKS1_S3_PS1_EviiT4_lT5_lllS6_lllT6_lmli
	.p2align	8
	.type	_ZL18rocblas_ger_kernelILi32ELi32ELi2ELb1E19rocblas_complex_numIdEPKS1_S3_PS1_EviiT4_lT5_lllS6_lllT6_lmli,@function
_ZL18rocblas_ger_kernelILi32ELi32ELi2ELb1E19rocblas_complex_numIdEPKS1_S3_PS1_EviiT4_lT5_lllS6_lllT6_lmli: ; @_ZL18rocblas_ger_kernelILi32ELi32ELi2ELb1E19rocblas_complex_numIdEPKS1_S3_PS1_EviiT4_lT5_lllS6_lllT6_lmli
; %bb.0:
	s_clause 0x1
	s_load_b64 s[8:9], s[0:1], 0x0
	s_load_b128 s[4:7], s[0:1], 0x8
	s_waitcnt lgkmcnt(0)
	s_add_i32 s2, s8, -1
	s_mul_i32 s3, s15, s7
	s_ashr_i32 s7, s2, 31
	s_mul_hi_u32 s10, s15, s6
	s_lshr_b32 s7, s7, 27
	s_mul_i32 s6, s15, s6
	s_add_i32 s2, s2, s7
	s_add_i32 s7, s10, s3
	s_ashr_i32 s2, s2, 5
	s_lshl_b64 s[6:7], s[6:7], 4
	s_add_i32 s13, s2, 1
	s_add_u32 s4, s4, s6
	s_addc_u32 s5, s5, s7
	v_cvt_f32_u32_e32 v1, s13
	s_load_b128 s[4:7], s[4:5], 0x0
	s_delay_alu instid0(VALU_DEP_1) | instskip(SKIP_2) | instid1(VALU_DEP_1)
	v_rcp_iflag_f32_e32 v1, v1
	s_waitcnt_depctr 0xfff
	v_mul_f32_e32 v1, 0x4f7ffffe, v1
	v_cvt_u32_f32_e32 v1, v1
	s_waitcnt lgkmcnt(0)
	v_cmp_neq_f64_e64 s3, s[4:5], 0
	v_cmp_neq_f64_e64 s10, s[6:7], 0
	s_delay_alu instid0(VALU_DEP_1)
	s_or_b32 s10, s3, s10
	v_readfirstlane_b32 s3, v1
	s_and_not1_b32 vcc_lo, exec_lo, s10
	s_cbranch_vccnz .LBB32_14
; %bb.1:
	s_not_b32 s2, s2
	v_and_b32_e32 v5, 0x3ff, v0
	s_mul_i32 s2, s2, s3
	v_bfe_u32 v6, v0, 10, 10
	s_mul_hi_u32 s2, s3, s2
	s_delay_alu instid0(SALU_CYCLE_1) | instskip(NEXT) | instid1(SALU_CYCLE_1)
	s_add_i32 s3, s3, s2
	s_mul_hi_u32 s12, s14, s3
	s_clause 0x1
	s_load_b64 s[10:11], s[0:1], 0x58
	s_load_b64 s[2:3], s[0:1], 0x38
	s_mul_i32 s16, s12, s13
	s_add_i32 s17, s12, 1
	s_sub_i32 s16, s14, s16
	s_delay_alu instid0(SALU_CYCLE_1)
	s_sub_i32 s18, s16, s13
	s_cmp_ge_u32 s16, s13
	s_cselect_b32 s12, s17, s12
	s_cselect_b32 s16, s18, s16
	s_add_i32 s17, s12, 1
	s_cmp_ge_u32 s16, s13
	s_cselect_b32 s12, s17, s12
	s_delay_alu instid0(SALU_CYCLE_1) | instskip(NEXT) | instid1(SALU_CYCLE_1)
	s_mul_i32 s13, s12, s13
	s_sub_i32 s13, s14, s13
	s_delay_alu instid0(SALU_CYCLE_1)
	v_lshl_add_u32 v4, s13, 5, v5
	s_mov_b32 s13, exec_lo
	v_cmpx_eq_u32_e32 0, v6
	s_cbranch_execz .LBB32_5
; %bb.2:
	v_mov_b32_e32 v0, 0
	v_mov_b32_e32 v1, 0
	s_mov_b32 s14, exec_lo
	s_delay_alu instid0(VALU_DEP_1)
	v_dual_mov_b32 v3, v1 :: v_dual_mov_b32 v2, v0
	v_cmpx_gt_i32_e64 s8, v4
	s_cbranch_execz .LBB32_4
; %bb.3:
	s_clause 0x2
	s_load_b128 s[16:19], s[0:1], 0x20
	s_load_b64 s[20:21], s[0:1], 0x30
	s_load_b64 s[22:23], s[0:1], 0x18
	v_ashrrev_i32_e32 v0, 31, v4
	s_waitcnt lgkmcnt(0)
	v_mul_lo_u32 v2, v4, s19
	s_delay_alu instid0(VALU_DEP_2)
	v_mul_lo_u32 v3, v0, s18
	v_mad_u64_u32 v[0:1], null, v4, s18, 0
	s_mul_i32 s19, s15, s21
	s_mul_hi_u32 s21, s15, s20
	s_mul_i32 s18, s15, s20
	s_add_i32 s19, s21, s19
	s_delay_alu instid0(SALU_CYCLE_1) | instskip(NEXT) | instid1(VALU_DEP_1)
	s_lshl_b64 s[18:19], s[18:19], 4
	v_add3_u32 v1, v1, v2, v3
	s_add_u32 s18, s22, s18
	s_addc_u32 s19, s23, s19
	s_lshl_b64 s[16:17], s[16:17], 4
	s_delay_alu instid0(VALU_DEP_1) | instskip(SKIP_2) | instid1(VALU_DEP_1)
	v_lshlrev_b64 v[0:1], 4, v[0:1]
	s_add_u32 s16, s18, s16
	s_addc_u32 s17, s19, s17
	v_add_co_u32 v0, vcc_lo, s16, v0
	s_delay_alu instid0(VALU_DEP_2)
	v_add_co_ci_u32_e32 v1, vcc_lo, s17, v1, vcc_lo
	global_load_b128 v[0:3], v[0:1], off
.LBB32_4:
	s_or_b32 exec_lo, exec_lo, s14
	v_lshlrev_b32_e32 v7, 4, v5
	s_waitcnt vmcnt(0)
	ds_store_b128 v7, v[0:3] offset:1024
.LBB32_5:
	s_or_b32 exec_lo, exec_lo, s13
	v_lshlrev_b32_e32 v7, 1, v6
	s_delay_alu instid0(VALU_DEP_1)
	v_lshl_add_u32 v6, s12, 6, v7
	s_mov_b32 s12, exec_lo
	v_cmpx_gt_u32_e32 2, v5
	s_cbranch_execz .LBB32_9
; %bb.6:
	v_mov_b32_e32 v0, 0
	v_mov_b32_e32 v1, 0
	v_or_b32_e32 v8, v6, v5
	s_mov_b32 s13, exec_lo
	s_delay_alu instid0(VALU_DEP_2) | instskip(NEXT) | instid1(VALU_DEP_2)
	v_dual_mov_b32 v3, v1 :: v_dual_mov_b32 v2, v0
	v_cmpx_gt_u32_e64 s9, v8
	s_cbranch_execz .LBB32_8
; %bb.7:
	s_clause 0x1
	s_load_b128 s[16:19], s[0:1], 0x40
	s_load_b64 s[20:21], s[0:1], 0x50
	s_waitcnt lgkmcnt(0)
	v_mad_u64_u32 v[0:1], null, v8, s18, 0
	s_mul_i32 s14, s15, s21
	s_mul_i32 s18, s15, s20
	s_delay_alu instid0(VALU_DEP_1) | instskip(SKIP_1) | instid1(SALU_CYCLE_1)
	v_mad_u64_u32 v[2:3], null, v8, s19, v[1:2]
	s_mul_hi_u32 s19, s15, s20
	s_add_i32 s19, s19, s14
	s_delay_alu instid0(SALU_CYCLE_1) | instskip(NEXT) | instid1(SALU_CYCLE_1)
	s_lshl_b64 s[18:19], s[18:19], 4
	s_add_u32 s14, s2, s18
	s_delay_alu instid0(VALU_DEP_1) | instskip(SKIP_2) | instid1(SALU_CYCLE_1)
	v_mov_b32_e32 v1, v2
	s_addc_u32 s18, s3, s19
	s_lshl_b64 s[2:3], s[16:17], 4
	s_add_u32 s2, s14, s2
	s_delay_alu instid0(VALU_DEP_1) | instskip(SKIP_1) | instid1(VALU_DEP_1)
	v_lshlrev_b64 v[0:1], 4, v[0:1]
	s_addc_u32 s3, s18, s3
	v_add_co_u32 v0, vcc_lo, s2, v0
	s_delay_alu instid0(VALU_DEP_2)
	v_add_co_ci_u32_e32 v1, vcc_lo, s3, v1, vcc_lo
	global_load_b128 v[0:3], v[0:1], off
.LBB32_8:
	s_or_b32 exec_lo, exec_lo, s13
	v_or_b32_e32 v8, v7, v5
	s_delay_alu instid0(VALU_DEP_1)
	v_lshlrev_b32_e32 v8, 4, v8
	s_waitcnt vmcnt(0)
	ds_store_b128 v8, v[0:3]
.LBB32_9:
	s_or_b32 exec_lo, exec_lo, s12
	s_waitcnt lgkmcnt(0)
	s_barrier
	buffer_gl0_inv
	s_mov_b32 s2, exec_lo
	v_cmpx_gt_i32_e64 s8, v4
	s_cbranch_execz .LBB32_14
; %bb.10:
	v_lshlrev_b32_e32 v0, 4, v5
	s_clause 0x1
	s_load_b64 s[12:13], s[0:1], 0x70
	s_load_b128 s[0:3], s[0:1], 0x60
	v_ashrrev_i32_e32 v5, 31, v4
	ds_load_b128 v[8:11], v0 offset:1024
	s_waitcnt lgkmcnt(0)
	v_mul_f64 v[0:1], s[6:7], v[10:11]
	v_mul_f64 v[2:3], s[4:5], v[10:11]
	s_delay_alu instid0(VALU_DEP_2) | instskip(NEXT) | instid1(VALU_DEP_2)
	v_fma_f64 v[0:1], s[4:5], v[8:9], -v[0:1]
	v_fma_f64 v[2:3], s[6:7], v[8:9], v[2:3]
	s_mul_i32 s4, s15, s13
	s_mul_hi_u32 s5, s15, s12
	v_lshlrev_b64 v[8:9], 4, v[4:5]
	s_add_i32 s5, s5, s4
	s_mul_i32 s4, s15, s12
	v_lshlrev_b32_e32 v4, 4, v7
	s_lshl_b64 s[4:5], s[4:5], 4
	s_delay_alu instid0(SALU_CYCLE_1) | instskip(SKIP_2) | instid1(SALU_CYCLE_1)
	s_add_u32 s4, s10, s4
	s_addc_u32 s5, s11, s5
	s_lshl_b64 s[0:1], s[0:1], 4
	s_add_u32 s0, s4, s0
	s_addc_u32 s1, s5, s1
	v_add_co_u32 v5, vcc_lo, s0, v8
	v_add_co_ci_u32_e32 v8, vcc_lo, s1, v9, vcc_lo
	s_mov_b32 s0, exec_lo
	v_cmpx_gt_i32_e64 s9, v6
	s_cbranch_execz .LBB32_12
; %bb.11:
	v_ashrrev_i32_e32 v7, 31, v6
	v_mul_lo_u32 v11, v6, s3
	v_mad_u64_u32 v[9:10], null, v6, s2, 0
	ds_load_b128 v[13:16], v4
	v_mul_lo_u32 v7, v7, s2
	s_delay_alu instid0(VALU_DEP_1) | instskip(NEXT) | instid1(VALU_DEP_1)
	v_add3_u32 v10, v10, v11, v7
	v_lshlrev_b64 v[9:10], 4, v[9:10]
	s_waitcnt lgkmcnt(0)
	v_mul_f64 v[19:20], v[2:3], v[15:16]
	s_delay_alu instid0(VALU_DEP_2) | instskip(NEXT) | instid1(VALU_DEP_3)
	v_add_co_u32 v17, vcc_lo, v5, v9
	v_add_co_ci_u32_e32 v18, vcc_lo, v8, v10, vcc_lo
	v_mul_f64 v[15:16], v[0:1], v[15:16]
	global_load_b128 v[9:12], v[17:18], off
	v_fma_f64 v[19:20], v[0:1], v[13:14], v[19:20]
	v_fma_f64 v[13:14], v[2:3], v[13:14], -v[15:16]
	s_waitcnt vmcnt(0)
	s_delay_alu instid0(VALU_DEP_2) | instskip(NEXT) | instid1(VALU_DEP_2)
	v_add_f64 v[9:10], v[9:10], v[19:20]
	v_add_f64 v[11:12], v[11:12], v[13:14]
	global_store_b128 v[17:18], v[9:12], off
.LBB32_12:
	s_or_b32 exec_lo, exec_lo, s0
	v_or_b32_e32 v6, 1, v6
	s_delay_alu instid0(VALU_DEP_1)
	v_cmp_gt_i32_e32 vcc_lo, s9, v6
	s_and_b32 exec_lo, exec_lo, vcc_lo
	s_cbranch_execz .LBB32_14
; %bb.13:
	v_ashrrev_i32_e32 v7, 31, v6
	v_mul_lo_u32 v11, v6, s3
	v_mad_u64_u32 v[9:10], null, v6, s2, 0
	s_delay_alu instid0(VALU_DEP_3) | instskip(NEXT) | instid1(VALU_DEP_1)
	v_mul_lo_u32 v6, v7, s2
	v_add3_u32 v10, v10, v11, v6
	s_delay_alu instid0(VALU_DEP_1)
	v_lshlrev_b64 v[6:7], 4, v[9:10]
	ds_load_b128 v[9:12], v4 offset:16
	v_add_co_u32 v13, vcc_lo, v5, v6
	v_add_co_ci_u32_e32 v14, vcc_lo, v8, v7, vcc_lo
	global_load_b128 v[5:8], v[13:14], off
	s_waitcnt lgkmcnt(0)
	v_mul_f64 v[15:16], v[2:3], v[11:12]
	v_mul_f64 v[11:12], v[0:1], v[11:12]
	s_delay_alu instid0(VALU_DEP_2) | instskip(NEXT) | instid1(VALU_DEP_2)
	v_fma_f64 v[0:1], v[0:1], v[9:10], v[15:16]
	v_fma_f64 v[2:3], v[2:3], v[9:10], -v[11:12]
	s_waitcnt vmcnt(0)
	s_delay_alu instid0(VALU_DEP_2) | instskip(NEXT) | instid1(VALU_DEP_2)
	v_add_f64 v[0:1], v[5:6], v[0:1]
	v_add_f64 v[2:3], v[7:8], v[2:3]
	global_store_b128 v[13:14], v[0:3], off
.LBB32_14:
	s_nop 0
	s_sendmsg sendmsg(MSG_DEALLOC_VGPRS)
	s_endpgm
	.section	.rodata,"a",@progbits
	.p2align	6, 0x0
	.amdhsa_kernel _ZL18rocblas_ger_kernelILi32ELi32ELi2ELb1E19rocblas_complex_numIdEPKS1_S3_PS1_EviiT4_lT5_lllS6_lllT6_lmli
		.amdhsa_group_segment_fixed_size 1536
		.amdhsa_private_segment_fixed_size 0
		.amdhsa_kernarg_size 124
		.amdhsa_user_sgpr_count 14
		.amdhsa_user_sgpr_dispatch_ptr 0
		.amdhsa_user_sgpr_queue_ptr 0
		.amdhsa_user_sgpr_kernarg_segment_ptr 1
		.amdhsa_user_sgpr_dispatch_id 0
		.amdhsa_user_sgpr_private_segment_size 0
		.amdhsa_wavefront_size32 1
		.amdhsa_uses_dynamic_stack 0
		.amdhsa_enable_private_segment 0
		.amdhsa_system_sgpr_workgroup_id_x 1
		.amdhsa_system_sgpr_workgroup_id_y 0
		.amdhsa_system_sgpr_workgroup_id_z 1
		.amdhsa_system_sgpr_workgroup_info 0
		.amdhsa_system_vgpr_workitem_id 1
		.amdhsa_next_free_vgpr 21
		.amdhsa_next_free_sgpr 24
		.amdhsa_reserve_vcc 1
		.amdhsa_float_round_mode_32 0
		.amdhsa_float_round_mode_16_64 0
		.amdhsa_float_denorm_mode_32 3
		.amdhsa_float_denorm_mode_16_64 3
		.amdhsa_dx10_clamp 1
		.amdhsa_ieee_mode 1
		.amdhsa_fp16_overflow 0
		.amdhsa_workgroup_processor_mode 1
		.amdhsa_memory_ordered 1
		.amdhsa_forward_progress 0
		.amdhsa_shared_vgpr_count 0
		.amdhsa_exception_fp_ieee_invalid_op 0
		.amdhsa_exception_fp_denorm_src 0
		.amdhsa_exception_fp_ieee_div_zero 0
		.amdhsa_exception_fp_ieee_overflow 0
		.amdhsa_exception_fp_ieee_underflow 0
		.amdhsa_exception_fp_ieee_inexact 0
		.amdhsa_exception_int_div_zero 0
	.end_amdhsa_kernel
	.section	.text._ZL18rocblas_ger_kernelILi32ELi32ELi2ELb1E19rocblas_complex_numIdEPKS1_S3_PS1_EviiT4_lT5_lllS6_lllT6_lmli,"axG",@progbits,_ZL18rocblas_ger_kernelILi32ELi32ELi2ELb1E19rocblas_complex_numIdEPKS1_S3_PS1_EviiT4_lT5_lllS6_lllT6_lmli,comdat
.Lfunc_end32:
	.size	_ZL18rocblas_ger_kernelILi32ELi32ELi2ELb1E19rocblas_complex_numIdEPKS1_S3_PS1_EviiT4_lT5_lllS6_lllT6_lmli, .Lfunc_end32-_ZL18rocblas_ger_kernelILi32ELi32ELi2ELb1E19rocblas_complex_numIdEPKS1_S3_PS1_EviiT4_lT5_lllS6_lllT6_lmli
                                        ; -- End function
	.section	.AMDGPU.csdata,"",@progbits
; Kernel info:
; codeLenInByte = 1264
; NumSgprs: 26
; NumVgprs: 21
; ScratchSize: 0
; MemoryBound: 0
; FloatMode: 240
; IeeeMode: 1
; LDSByteSize: 1536 bytes/workgroup (compile time only)
; SGPRBlocks: 3
; VGPRBlocks: 2
; NumSGPRsForWavesPerEU: 26
; NumVGPRsForWavesPerEU: 21
; Occupancy: 16
; WaveLimiterHint : 0
; COMPUTE_PGM_RSRC2:SCRATCH_EN: 0
; COMPUTE_PGM_RSRC2:USER_SGPR: 14
; COMPUTE_PGM_RSRC2:TRAP_HANDLER: 0
; COMPUTE_PGM_RSRC2:TGID_X_EN: 1
; COMPUTE_PGM_RSRC2:TGID_Y_EN: 0
; COMPUTE_PGM_RSRC2:TGID_Z_EN: 1
; COMPUTE_PGM_RSRC2:TIDIG_COMP_CNT: 1
	.section	.text._ZL18rocblas_ger_kernelILi32ELi32ELi2ELb1E19rocblas_complex_numIdES1_PKS1_PS1_EviiT4_lT5_lllS6_lllT6_lmli,"axG",@progbits,_ZL18rocblas_ger_kernelILi32ELi32ELi2ELb1E19rocblas_complex_numIdES1_PKS1_PS1_EviiT4_lT5_lllS6_lllT6_lmli,comdat
	.globl	_ZL18rocblas_ger_kernelILi32ELi32ELi2ELb1E19rocblas_complex_numIdES1_PKS1_PS1_EviiT4_lT5_lllS6_lllT6_lmli ; -- Begin function _ZL18rocblas_ger_kernelILi32ELi32ELi2ELb1E19rocblas_complex_numIdES1_PKS1_PS1_EviiT4_lT5_lllS6_lllT6_lmli
	.p2align	8
	.type	_ZL18rocblas_ger_kernelILi32ELi32ELi2ELb1E19rocblas_complex_numIdES1_PKS1_PS1_EviiT4_lT5_lllS6_lllT6_lmli,@function
_ZL18rocblas_ger_kernelILi32ELi32ELi2ELb1E19rocblas_complex_numIdES1_PKS1_PS1_EviiT4_lT5_lllS6_lllT6_lmli: ; @_ZL18rocblas_ger_kernelILi32ELi32ELi2ELb1E19rocblas_complex_numIdES1_PKS1_PS1_EviiT4_lT5_lllS6_lllT6_lmli
; %bb.0:
	s_clause 0x1
	s_load_b128 s[4:7], s[0:1], 0x8
	s_load_b64 s[8:9], s[0:1], 0x0
	s_waitcnt lgkmcnt(0)
	v_cmp_neq_f64_e64 s3, s[4:5], 0
	v_cmp_neq_f64_e64 s10, s[6:7], 0
	s_add_i32 s2, s8, -1
	s_delay_alu instid0(SALU_CYCLE_1) | instskip(NEXT) | instid1(SALU_CYCLE_1)
	s_ashr_i32 s11, s2, 31
	s_lshr_b32 s11, s11, 27
	s_delay_alu instid0(SALU_CYCLE_1) | instskip(NEXT) | instid1(SALU_CYCLE_1)
	s_add_i32 s2, s2, s11
	s_ashr_i32 s2, s2, 5
	s_delay_alu instid0(SALU_CYCLE_1) | instskip(NEXT) | instid1(SALU_CYCLE_1)
	s_add_i32 s13, s2, 1
	v_cvt_f32_u32_e32 v1, s13
	s_delay_alu instid0(VALU_DEP_1) | instskip(SKIP_2) | instid1(VALU_DEP_1)
	v_rcp_iflag_f32_e32 v1, v1
	s_waitcnt_depctr 0xfff
	v_mul_f32_e32 v1, 0x4f7ffffe, v1
	v_cvt_u32_f32_e32 v1, v1
	s_or_b32 s10, s3, s10
	s_delay_alu instid0(VALU_DEP_1)
	v_readfirstlane_b32 s3, v1
	s_and_not1_b32 vcc_lo, exec_lo, s10
	s_cbranch_vccnz .LBB33_14
; %bb.1:
	s_not_b32 s2, s2
	v_and_b32_e32 v5, 0x3ff, v0
	s_mul_i32 s2, s2, s3
	v_bfe_u32 v6, v0, 10, 10
	s_mul_hi_u32 s2, s3, s2
	s_delay_alu instid0(SALU_CYCLE_1) | instskip(NEXT) | instid1(SALU_CYCLE_1)
	s_add_i32 s3, s3, s2
	s_mul_hi_u32 s12, s14, s3
	s_clause 0x1
	s_load_b64 s[10:11], s[0:1], 0x60
	s_load_b64 s[2:3], s[0:1], 0x40
	s_mul_i32 s16, s12, s13
	s_add_i32 s17, s12, 1
	s_sub_i32 s16, s14, s16
	s_delay_alu instid0(SALU_CYCLE_1)
	s_sub_i32 s18, s16, s13
	s_cmp_ge_u32 s16, s13
	s_cselect_b32 s12, s17, s12
	s_cselect_b32 s16, s18, s16
	s_add_i32 s17, s12, 1
	s_cmp_ge_u32 s16, s13
	s_cselect_b32 s12, s17, s12
	s_delay_alu instid0(SALU_CYCLE_1) | instskip(NEXT) | instid1(SALU_CYCLE_1)
	s_mul_i32 s13, s12, s13
	s_sub_i32 s13, s14, s13
	s_delay_alu instid0(SALU_CYCLE_1)
	v_lshl_add_u32 v4, s13, 5, v5
	s_mov_b32 s13, exec_lo
	v_cmpx_eq_u32_e32 0, v6
	s_cbranch_execz .LBB33_5
; %bb.2:
	v_mov_b32_e32 v0, 0
	v_mov_b32_e32 v1, 0
	s_mov_b32 s14, exec_lo
	s_delay_alu instid0(VALU_DEP_1)
	v_dual_mov_b32 v3, v1 :: v_dual_mov_b32 v2, v0
	v_cmpx_gt_i32_e64 s8, v4
	s_cbranch_execz .LBB33_4
; %bb.3:
	s_clause 0x2
	s_load_b128 s[16:19], s[0:1], 0x28
	s_load_b64 s[20:21], s[0:1], 0x38
	s_load_b64 s[22:23], s[0:1], 0x20
	v_ashrrev_i32_e32 v0, 31, v4
	s_waitcnt lgkmcnt(0)
	v_mul_lo_u32 v2, v4, s19
	s_delay_alu instid0(VALU_DEP_2)
	v_mul_lo_u32 v3, v0, s18
	v_mad_u64_u32 v[0:1], null, v4, s18, 0
	s_mul_i32 s19, s15, s21
	s_mul_hi_u32 s21, s15, s20
	s_mul_i32 s18, s15, s20
	s_add_i32 s19, s21, s19
	s_delay_alu instid0(SALU_CYCLE_1) | instskip(NEXT) | instid1(VALU_DEP_1)
	s_lshl_b64 s[18:19], s[18:19], 4
	v_add3_u32 v1, v1, v2, v3
	s_add_u32 s18, s22, s18
	s_addc_u32 s19, s23, s19
	s_lshl_b64 s[16:17], s[16:17], 4
	s_delay_alu instid0(VALU_DEP_1) | instskip(SKIP_2) | instid1(VALU_DEP_1)
	v_lshlrev_b64 v[0:1], 4, v[0:1]
	s_add_u32 s16, s18, s16
	s_addc_u32 s17, s19, s17
	v_add_co_u32 v0, vcc_lo, s16, v0
	s_delay_alu instid0(VALU_DEP_2)
	v_add_co_ci_u32_e32 v1, vcc_lo, s17, v1, vcc_lo
	global_load_b128 v[0:3], v[0:1], off
.LBB33_4:
	s_or_b32 exec_lo, exec_lo, s14
	v_lshlrev_b32_e32 v7, 4, v5
	s_waitcnt vmcnt(0)
	ds_store_b128 v7, v[0:3] offset:1024
.LBB33_5:
	s_or_b32 exec_lo, exec_lo, s13
	v_lshlrev_b32_e32 v7, 1, v6
	s_delay_alu instid0(VALU_DEP_1)
	v_lshl_add_u32 v6, s12, 6, v7
	s_mov_b32 s12, exec_lo
	v_cmpx_gt_u32_e32 2, v5
	s_cbranch_execz .LBB33_9
; %bb.6:
	v_mov_b32_e32 v0, 0
	v_mov_b32_e32 v1, 0
	v_or_b32_e32 v8, v6, v5
	s_mov_b32 s13, exec_lo
	s_delay_alu instid0(VALU_DEP_2) | instskip(NEXT) | instid1(VALU_DEP_2)
	v_dual_mov_b32 v3, v1 :: v_dual_mov_b32 v2, v0
	v_cmpx_gt_u32_e64 s9, v8
	s_cbranch_execz .LBB33_8
; %bb.7:
	s_clause 0x1
	s_load_b128 s[16:19], s[0:1], 0x48
	s_load_b64 s[20:21], s[0:1], 0x58
	s_waitcnt lgkmcnt(0)
	v_mad_u64_u32 v[0:1], null, v8, s18, 0
	s_mul_i32 s14, s15, s21
	s_mul_i32 s18, s15, s20
	s_delay_alu instid0(VALU_DEP_1) | instskip(SKIP_1) | instid1(SALU_CYCLE_1)
	v_mad_u64_u32 v[2:3], null, v8, s19, v[1:2]
	s_mul_hi_u32 s19, s15, s20
	s_add_i32 s19, s19, s14
	s_delay_alu instid0(SALU_CYCLE_1) | instskip(NEXT) | instid1(SALU_CYCLE_1)
	s_lshl_b64 s[18:19], s[18:19], 4
	s_add_u32 s14, s2, s18
	s_delay_alu instid0(VALU_DEP_1) | instskip(SKIP_2) | instid1(SALU_CYCLE_1)
	v_mov_b32_e32 v1, v2
	s_addc_u32 s18, s3, s19
	s_lshl_b64 s[2:3], s[16:17], 4
	s_add_u32 s2, s14, s2
	s_delay_alu instid0(VALU_DEP_1) | instskip(SKIP_1) | instid1(VALU_DEP_1)
	v_lshlrev_b64 v[0:1], 4, v[0:1]
	s_addc_u32 s3, s18, s3
	v_add_co_u32 v0, vcc_lo, s2, v0
	s_delay_alu instid0(VALU_DEP_2)
	v_add_co_ci_u32_e32 v1, vcc_lo, s3, v1, vcc_lo
	global_load_b128 v[0:3], v[0:1], off
.LBB33_8:
	s_or_b32 exec_lo, exec_lo, s13
	v_or_b32_e32 v8, v7, v5
	s_delay_alu instid0(VALU_DEP_1)
	v_lshlrev_b32_e32 v8, 4, v8
	s_waitcnt vmcnt(0)
	ds_store_b128 v8, v[0:3]
.LBB33_9:
	s_or_b32 exec_lo, exec_lo, s12
	s_waitcnt lgkmcnt(0)
	s_barrier
	buffer_gl0_inv
	s_mov_b32 s2, exec_lo
	v_cmpx_gt_i32_e64 s8, v4
	s_cbranch_execz .LBB33_14
; %bb.10:
	v_lshlrev_b32_e32 v0, 4, v5
	s_clause 0x1
	s_load_b64 s[12:13], s[0:1], 0x78
	s_load_b128 s[0:3], s[0:1], 0x68
	v_ashrrev_i32_e32 v5, 31, v4
	ds_load_b128 v[8:11], v0 offset:1024
	s_waitcnt lgkmcnt(0)
	v_mul_f64 v[0:1], s[6:7], v[10:11]
	v_mul_f64 v[2:3], s[4:5], v[10:11]
	s_delay_alu instid0(VALU_DEP_2) | instskip(NEXT) | instid1(VALU_DEP_2)
	v_fma_f64 v[0:1], s[4:5], v[8:9], -v[0:1]
	v_fma_f64 v[2:3], s[6:7], v[8:9], v[2:3]
	s_mul_i32 s4, s15, s13
	s_mul_hi_u32 s5, s15, s12
	v_lshlrev_b64 v[8:9], 4, v[4:5]
	s_add_i32 s5, s5, s4
	s_mul_i32 s4, s15, s12
	v_lshlrev_b32_e32 v4, 4, v7
	s_lshl_b64 s[4:5], s[4:5], 4
	s_delay_alu instid0(SALU_CYCLE_1) | instskip(SKIP_2) | instid1(SALU_CYCLE_1)
	s_add_u32 s4, s10, s4
	s_addc_u32 s5, s11, s5
	s_lshl_b64 s[0:1], s[0:1], 4
	s_add_u32 s0, s4, s0
	s_addc_u32 s1, s5, s1
	v_add_co_u32 v5, vcc_lo, s0, v8
	v_add_co_ci_u32_e32 v8, vcc_lo, s1, v9, vcc_lo
	s_mov_b32 s0, exec_lo
	v_cmpx_gt_i32_e64 s9, v6
	s_cbranch_execz .LBB33_12
; %bb.11:
	v_ashrrev_i32_e32 v7, 31, v6
	v_mul_lo_u32 v11, v6, s3
	v_mad_u64_u32 v[9:10], null, v6, s2, 0
	ds_load_b128 v[13:16], v4
	v_mul_lo_u32 v7, v7, s2
	s_delay_alu instid0(VALU_DEP_1) | instskip(NEXT) | instid1(VALU_DEP_1)
	v_add3_u32 v10, v10, v11, v7
	v_lshlrev_b64 v[9:10], 4, v[9:10]
	s_waitcnt lgkmcnt(0)
	v_mul_f64 v[19:20], v[2:3], v[15:16]
	s_delay_alu instid0(VALU_DEP_2) | instskip(NEXT) | instid1(VALU_DEP_3)
	v_add_co_u32 v17, vcc_lo, v5, v9
	v_add_co_ci_u32_e32 v18, vcc_lo, v8, v10, vcc_lo
	v_mul_f64 v[15:16], v[0:1], v[15:16]
	global_load_b128 v[9:12], v[17:18], off
	v_fma_f64 v[19:20], v[0:1], v[13:14], v[19:20]
	v_fma_f64 v[13:14], v[2:3], v[13:14], -v[15:16]
	s_waitcnt vmcnt(0)
	s_delay_alu instid0(VALU_DEP_2) | instskip(NEXT) | instid1(VALU_DEP_2)
	v_add_f64 v[9:10], v[9:10], v[19:20]
	v_add_f64 v[11:12], v[11:12], v[13:14]
	global_store_b128 v[17:18], v[9:12], off
.LBB33_12:
	s_or_b32 exec_lo, exec_lo, s0
	v_or_b32_e32 v6, 1, v6
	s_delay_alu instid0(VALU_DEP_1)
	v_cmp_gt_i32_e32 vcc_lo, s9, v6
	s_and_b32 exec_lo, exec_lo, vcc_lo
	s_cbranch_execz .LBB33_14
; %bb.13:
	v_ashrrev_i32_e32 v7, 31, v6
	v_mul_lo_u32 v11, v6, s3
	v_mad_u64_u32 v[9:10], null, v6, s2, 0
	s_delay_alu instid0(VALU_DEP_3) | instskip(NEXT) | instid1(VALU_DEP_1)
	v_mul_lo_u32 v6, v7, s2
	v_add3_u32 v10, v10, v11, v6
	s_delay_alu instid0(VALU_DEP_1)
	v_lshlrev_b64 v[6:7], 4, v[9:10]
	ds_load_b128 v[9:12], v4 offset:16
	v_add_co_u32 v13, vcc_lo, v5, v6
	v_add_co_ci_u32_e32 v14, vcc_lo, v8, v7, vcc_lo
	global_load_b128 v[5:8], v[13:14], off
	s_waitcnt lgkmcnt(0)
	v_mul_f64 v[15:16], v[2:3], v[11:12]
	v_mul_f64 v[11:12], v[0:1], v[11:12]
	s_delay_alu instid0(VALU_DEP_2) | instskip(NEXT) | instid1(VALU_DEP_2)
	v_fma_f64 v[0:1], v[0:1], v[9:10], v[15:16]
	v_fma_f64 v[2:3], v[2:3], v[9:10], -v[11:12]
	s_waitcnt vmcnt(0)
	s_delay_alu instid0(VALU_DEP_2) | instskip(NEXT) | instid1(VALU_DEP_2)
	v_add_f64 v[0:1], v[5:6], v[0:1]
	v_add_f64 v[2:3], v[7:8], v[2:3]
	global_store_b128 v[13:14], v[0:3], off
.LBB33_14:
	s_nop 0
	s_sendmsg sendmsg(MSG_DEALLOC_VGPRS)
	s_endpgm
	.section	.rodata,"a",@progbits
	.p2align	6, 0x0
	.amdhsa_kernel _ZL18rocblas_ger_kernelILi32ELi32ELi2ELb1E19rocblas_complex_numIdES1_PKS1_PS1_EviiT4_lT5_lllS6_lllT6_lmli
		.amdhsa_group_segment_fixed_size 1536
		.amdhsa_private_segment_fixed_size 0
		.amdhsa_kernarg_size 132
		.amdhsa_user_sgpr_count 14
		.amdhsa_user_sgpr_dispatch_ptr 0
		.amdhsa_user_sgpr_queue_ptr 0
		.amdhsa_user_sgpr_kernarg_segment_ptr 1
		.amdhsa_user_sgpr_dispatch_id 0
		.amdhsa_user_sgpr_private_segment_size 0
		.amdhsa_wavefront_size32 1
		.amdhsa_uses_dynamic_stack 0
		.amdhsa_enable_private_segment 0
		.amdhsa_system_sgpr_workgroup_id_x 1
		.amdhsa_system_sgpr_workgroup_id_y 0
		.amdhsa_system_sgpr_workgroup_id_z 1
		.amdhsa_system_sgpr_workgroup_info 0
		.amdhsa_system_vgpr_workitem_id 1
		.amdhsa_next_free_vgpr 21
		.amdhsa_next_free_sgpr 24
		.amdhsa_reserve_vcc 1
		.amdhsa_float_round_mode_32 0
		.amdhsa_float_round_mode_16_64 0
		.amdhsa_float_denorm_mode_32 3
		.amdhsa_float_denorm_mode_16_64 3
		.amdhsa_dx10_clamp 1
		.amdhsa_ieee_mode 1
		.amdhsa_fp16_overflow 0
		.amdhsa_workgroup_processor_mode 1
		.amdhsa_memory_ordered 1
		.amdhsa_forward_progress 0
		.amdhsa_shared_vgpr_count 0
		.amdhsa_exception_fp_ieee_invalid_op 0
		.amdhsa_exception_fp_denorm_src 0
		.amdhsa_exception_fp_ieee_div_zero 0
		.amdhsa_exception_fp_ieee_overflow 0
		.amdhsa_exception_fp_ieee_underflow 0
		.amdhsa_exception_fp_ieee_inexact 0
		.amdhsa_exception_int_div_zero 0
	.end_amdhsa_kernel
	.section	.text._ZL18rocblas_ger_kernelILi32ELi32ELi2ELb1E19rocblas_complex_numIdES1_PKS1_PS1_EviiT4_lT5_lllS6_lllT6_lmli,"axG",@progbits,_ZL18rocblas_ger_kernelILi32ELi32ELi2ELb1E19rocblas_complex_numIdES1_PKS1_PS1_EviiT4_lT5_lllS6_lllT6_lmli,comdat
.Lfunc_end33:
	.size	_ZL18rocblas_ger_kernelILi32ELi32ELi2ELb1E19rocblas_complex_numIdES1_PKS1_PS1_EviiT4_lT5_lllS6_lllT6_lmli, .Lfunc_end33-_ZL18rocblas_ger_kernelILi32ELi32ELi2ELb1E19rocblas_complex_numIdES1_PKS1_PS1_EviiT4_lT5_lllS6_lllT6_lmli
                                        ; -- End function
	.section	.AMDGPU.csdata,"",@progbits
; Kernel info:
; codeLenInByte = 1236
; NumSgprs: 26
; NumVgprs: 21
; ScratchSize: 0
; MemoryBound: 0
; FloatMode: 240
; IeeeMode: 1
; LDSByteSize: 1536 bytes/workgroup (compile time only)
; SGPRBlocks: 3
; VGPRBlocks: 2
; NumSGPRsForWavesPerEU: 26
; NumVGPRsForWavesPerEU: 21
; Occupancy: 16
; WaveLimiterHint : 0
; COMPUTE_PGM_RSRC2:SCRATCH_EN: 0
; COMPUTE_PGM_RSRC2:USER_SGPR: 14
; COMPUTE_PGM_RSRC2:TRAP_HANDLER: 0
; COMPUTE_PGM_RSRC2:TGID_X_EN: 1
; COMPUTE_PGM_RSRC2:TGID_Y_EN: 0
; COMPUTE_PGM_RSRC2:TGID_Z_EN: 1
; COMPUTE_PGM_RSRC2:TIDIG_COMP_CNT: 1
	.section	.text._ZL34rocblas_ger_double_buffered_kernelILb0ELi128ELi8ELi8Ef24rocblas_internal_val_ptrIfEPKPKfPKPfEvbiiT4_lT5_lllSA_lllT6_lmli,"axG",@progbits,_ZL34rocblas_ger_double_buffered_kernelILb0ELi128ELi8ELi8Ef24rocblas_internal_val_ptrIfEPKPKfPKPfEvbiiT4_lT5_lllSA_lllT6_lmli,comdat
	.globl	_ZL34rocblas_ger_double_buffered_kernelILb0ELi128ELi8ELi8Ef24rocblas_internal_val_ptrIfEPKPKfPKPfEvbiiT4_lT5_lllSA_lllT6_lmli ; -- Begin function _ZL34rocblas_ger_double_buffered_kernelILb0ELi128ELi8ELi8Ef24rocblas_internal_val_ptrIfEPKPKfPKPfEvbiiT4_lT5_lllSA_lllT6_lmli
	.p2align	8
	.type	_ZL34rocblas_ger_double_buffered_kernelILb0ELi128ELi8ELi8Ef24rocblas_internal_val_ptrIfEPKPKfPKPfEvbiiT4_lT5_lllSA_lllT6_lmli,@function
_ZL34rocblas_ger_double_buffered_kernelILb0ELi128ELi8ELi8Ef24rocblas_internal_val_ptrIfEPKPKfPKPfEvbiiT4_lT5_lllSA_lllT6_lmli: ; @_ZL34rocblas_ger_double_buffered_kernelILb0ELi128ELi8ELi8Ef24rocblas_internal_val_ptrIfEPKPKfPKPfEvbiiT4_lT5_lllSA_lllT6_lmli
; %bb.0:
	s_clause 0x1
	s_load_b32 s3, s[0:1], 0x0
	s_load_b128 s[4:7], s[0:1], 0x10
	s_mov_b32 s2, s15
	s_waitcnt lgkmcnt(0)
	s_bitcmp0_b32 s3, 0
	s_mov_b32 s3, 0
	s_cbranch_scc0 .LBB34_2
; %bb.1:
	s_mul_i32 s7, s2, s7
	s_mul_hi_u32 s8, s2, s6
	s_mul_i32 s6, s2, s6
	s_add_i32 s7, s8, s7
	s_delay_alu instid0(SALU_CYCLE_1) | instskip(NEXT) | instid1(SALU_CYCLE_1)
	s_lshl_b64 s[6:7], s[6:7], 2
	s_add_u32 s6, s4, s6
	s_addc_u32 s7, s5, s7
	s_load_b32 s12, s[6:7], 0x0
	s_and_not1_b32 vcc_lo, exec_lo, s3
	s_cbranch_vccz .LBB34_3
	s_branch .LBB34_4
.LBB34_2:
                                        ; implicit-def: $sgpr12
.LBB34_3:
	s_waitcnt lgkmcnt(0)
	s_mov_b32 s12, s4
.LBB34_4:
	s_waitcnt lgkmcnt(0)
	v_cmp_eq_f32_e64 s3, s12, 0
	s_delay_alu instid0(VALU_DEP_1)
	s_and_b32 vcc_lo, exec_lo, s3
	s_mov_b32 s3, 0
	s_cbranch_vccnz .LBB34_6
; %bb.5:
	s_clause 0x1
	s_load_b64 s[16:17], s[0:1], 0x60
	s_load_b128 s[4:7], s[0:1], 0x68
	s_lshl_b64 s[18:19], s[2:3], 3
	s_load_b128 s[8:11], s[0:1], 0x28
	v_and_b32_e32 v1, 0x3ff, v0
	v_bfe_u32 v0, v0, 10, 10
	s_delay_alu instid0(VALU_DEP_2) | instskip(NEXT) | instid1(VALU_DEP_2)
	v_and_b32_e32 v10, 63, v1
	v_lshl_add_u32 v0, v0, 7, v1
	s_delay_alu instid0(VALU_DEP_2) | instskip(NEXT) | instid1(VALU_DEP_2)
	v_or_b32_e32 v9, 64, v10
	v_lshrrev_b32_e32 v34, 3, v0
	s_delay_alu instid0(VALU_DEP_1)
	v_and_b32_e32 v31, 0x7ff8, v34
	s_waitcnt lgkmcnt(0)
	s_add_u32 s2, s16, s18
	s_addc_u32 s3, s17, s19
	s_lshl_b64 s[4:5], s[4:5], 2
	s_load_b64 s[16:17], s[2:3], 0x0
	s_clause 0x1
	s_load_b64 s[20:21], s[0:1], 0x40
	s_load_b64 s[22:23], s[0:1], 0x20
	v_mad_u64_u32 v[2:3], null, v10, s10, 0
	v_mad_u64_u32 v[4:5], null, v9, s10, 0
	;; [unrolled: 1-line block ×3, first 2 shown]
	s_load_b128 s[0:3], s[0:1], 0x48
	v_or_b32_e32 v47, 7, v34
	s_delay_alu instid0(VALU_DEP_3) | instskip(NEXT) | instid1(VALU_DEP_1)
	v_mad_u64_u32 v[6:7], null, v10, s11, v[3:4]
	v_mad_u64_u32 v[7:8], null, v9, s11, v[5:6]
	s_waitcnt lgkmcnt(0)
	s_add_u32 s15, s16, s4
	s_addc_u32 s24, s17, s5
	s_add_u32 s4, s20, s18
	s_addc_u32 s5, s21, s19
	;; [unrolled: 2-line block ×3, first 2 shown]
	s_lshl_b64 s[8:9], s[8:9], 2
	s_load_b64 s[16:17], s[16:17], 0x0
	v_mad_u64_u32 v[8:9], null, v31, s7, v[1:2]
	v_mov_b32_e32 v3, v6
	v_dual_mov_b32 v5, v7 :: v_dual_lshlrev_b32 v6, 2, v10
	s_load_b64 s[4:5], s[4:5], 0x0
	s_delay_alu instid0(VALU_DEP_2) | instskip(NEXT) | instid1(VALU_DEP_4)
	v_lshlrev_b64 v[2:3], 2, v[2:3]
	v_mov_b32_e32 v1, v8
	s_delay_alu instid0(VALU_DEP_3) | instskip(NEXT) | instid1(VALU_DEP_2)
	v_lshlrev_b64 v[4:5], 2, v[4:5]
	v_lshlrev_b64 v[0:1], 2, v[0:1]
	s_waitcnt lgkmcnt(0)
	s_add_u32 s20, s16, s8
	s_addc_u32 s21, s17, s9
	s_lshl_b32 s8, s13, 7
	s_delay_alu instid0(SALU_CYCLE_1)
	s_ashr_i32 s9, s8, 31
	s_mul_i32 s11, s8, s11
	s_lshl_b64 s[16:17], s[8:9], 2
	s_mul_hi_u32 s13, s8, s10
	s_add_u32 s15, s15, s16
	s_addc_u32 s16, s24, s17
	s_lshl_b32 s14, s14, 7
	s_mul_i32 s18, s8, s10
	s_mul_i32 s10, s9, s10
	;; [unrolled: 1-line block ×3, first 2 shown]
	s_mul_hi_u32 s9, s14, s6
	s_ashr_i32 s17, s14, 31
	s_add_i32 s9, s9, s8
	s_mul_i32 s19, s17, s6
	s_mul_i32 s8, s14, s6
	s_add_i32 s9, s9, s19
	s_mul_i32 s22, s14, s3
	s_lshl_b64 s[8:9], s[8:9], 2
	s_mul_hi_u32 s23, s14, s2
	s_add_u32 s15, s15, s8
	s_addc_u32 s9, s16, s9
	s_add_i32 s11, s13, s11
	v_add_co_u32 v0, vcc_lo, s15, v0
	s_add_i32 s19, s11, s10
	v_add_co_ci_u32_e32 v1, vcc_lo, s9, v1, vcc_lo
	s_lshl_b64 s[10:11], s[18:19], 2
	s_delay_alu instid0(VALU_DEP_2) | instskip(SKIP_1) | instid1(VALU_DEP_2)
	v_add_co_u32 v0, vcc_lo, v0, v6
	s_add_u32 s13, s20, s10
	v_add_co_ci_u32_e32 v1, vcc_lo, 0, v1, vcc_lo
	s_addc_u32 s16, s21, s11
	v_add_co_u32 v2, vcc_lo, s13, v2
	v_add_co_ci_u32_e32 v3, vcc_lo, s16, v3, vcc_lo
	v_add_co_u32 v4, vcc_lo, s13, v4
	v_add_co_ci_u32_e32 v5, vcc_lo, s16, v5, vcc_lo
	global_load_b32 v37, v[0:1], off
	s_clause 0x1
	global_load_b32 v38, v[2:3], off
	global_load_b32 v39, v[4:5], off
	v_mad_u64_u32 v[8:9], null, s6, 20, v[0:1]
	s_lshl_b64 s[10:11], s[6:7], 2
	v_mad_u64_u32 v[15:16], null, s6, 24, v[0:1]
	v_add_co_u32 v10, vcc_lo, v0, s10
	v_mad_u64_u32 v[6:7], null, s6, 12, v[0:1]
	s_mul_i32 s8, s14, s2
	s_delay_alu instid0(VALU_DEP_2) | instskip(SKIP_2) | instid1(VALU_DEP_4)
	v_mad_u64_u32 v[17:18], null, s7, 20, v[9:10]
	v_mad_u64_u32 v[18:19], null, s6, 28, v[0:1]
	v_mov_b32_e32 v2, v16
	v_mad_u64_u32 v[12:13], null, s7, 12, v[7:8]
	s_lshl_b64 s[14:15], s[6:7], 3
	v_add_co_ci_u32_e32 v11, vcc_lo, s11, v1, vcc_lo
	s_delay_alu instid0(VALU_DEP_3)
	v_mad_u64_u32 v[3:4], null, s7, 24, v[2:3]
	v_mov_b32_e32 v2, v19
	v_mad_u64_u32 v[4:5], null, v31, s2, 0
	v_mov_b32_e32 v7, v12
	v_or_b32_e32 v12, 1, v31
	v_or_b32_e32 v27, 2, v31
	v_mad_u64_u32 v[22:23], null, s7, 28, v[2:3]
	v_mov_b32_e32 v16, v3
	v_mov_b32_e32 v2, v5
	v_or_b32_e32 v28, 3, v31
	v_add_co_u32 v13, vcc_lo, v0, s14
	v_or_b32_e32 v36, 5, v31
	s_delay_alu instid0(VALU_DEP_4) | instskip(SKIP_2) | instid1(VALU_DEP_4)
	v_mad_u64_u32 v[23:24], null, v31, s3, v[2:3]
	v_mad_u64_u32 v[2:3], null, v12, s2, 0
	v_mov_b32_e32 v19, v22
	v_mad_u64_u32 v[29:30], null, v36, s2, 0
	v_or_b32_e32 v33, 4, v31
	v_or_b32_e32 v46, 6, v31
	s_mul_i32 s17, s17, s2
	v_mad_u64_u32 v[24:25], null, v12, s3, v[3:4]
	v_mad_u64_u32 v[25:26], null, v28, s2, 0
	v_mov_b32_e32 v5, v23
	v_mad_u64_u32 v[22:23], null, v27, s2, 0
	v_mov_b32_e32 v9, v17
	v_mov_b32_e32 v3, v24
	s_add_i32 s9, s23, s22
	s_lshl_b64 s[0:1], s[0:1], 2
	s_add_i32 s9, s9, s17
	s_lshl_b64 s[10:11], s[6:7], 4
	s_delay_alu instid0(VALU_DEP_3) | instskip(SKIP_3) | instid1(VALU_DEP_2)
	v_mov_b32_e32 v12, v23
	s_add_u32 s4, s4, s0
	v_add_co_ci_u32_e32 v14, vcc_lo, s15, v1, vcc_lo
	s_addc_u32 s5, s5, s1
	v_mad_u64_u32 v[23:24], null, v27, s3, v[12:13]
	v_mov_b32_e32 v12, v26
	v_lshlrev_b64 v[4:5], 2, v[4:5]
	s_lshl_b64 s[0:1], s[8:9], 2
	v_add_co_u32 v20, vcc_lo, v0, s10
	s_delay_alu instid0(VALU_DEP_3)
	v_mad_u64_u32 v[26:27], null, v28, s3, v[12:13]
	v_mad_u64_u32 v[27:28], null, v33, s2, 0
	s_add_u32 s0, s4, s0
	v_add_co_ci_u32_e32 v21, vcc_lo, s11, v1, vcc_lo
	global_load_b32 v41, v[10:11], off offset:256
	s_addc_u32 s1, s5, s1
	v_add_co_u32 v4, vcc_lo, s0, v4
	v_mov_b32_e32 v12, v28
	v_lshlrev_b64 v[22:23], 2, v[22:23]
	v_add_co_ci_u32_e32 v5, vcc_lo, s1, v5, vcc_lo
	v_lshlrev_b64 v[24:25], 2, v[25:26]
	s_delay_alu instid0(VALU_DEP_4)
	v_mad_u64_u32 v[31:32], null, v33, s3, v[12:13]
	v_mov_b32_e32 v12, v30
	v_mad_u64_u32 v[32:33], null, v46, s2, 0
	v_lshlrev_b64 v[2:3], 2, v[2:3]
	s_clause 0x1
	global_load_b32 v40, v[6:7], off
	global_load_b32 v17, v[8:9], off
	v_mad_u64_u32 v[34:35], null, v36, s3, v[12:13]
	v_mad_u64_u32 v[35:36], null, v47, s2, 0
	v_mov_b32_e32 v12, v33
	v_mov_b32_e32 v28, v31
	v_add_co_u32 v2, vcc_lo, s0, v2
	s_clause 0x3
	global_load_b32 v42, v[10:11], off
	global_load_b32 v43, v[0:1], off offset:256
	global_load_b32 v44, v[13:14], off
	global_load_b32 v45, v[13:14], off offset:256
	v_mov_b32_e32 v30, v34
	v_mad_u64_u32 v[33:34], null, v46, s3, v[12:13]
	v_mov_b32_e32 v12, v36
	v_add_co_ci_u32_e32 v3, vcc_lo, s1, v3, vcc_lo
	v_add_co_u32 v22, vcc_lo, s0, v22
	v_lshlrev_b64 v[26:27], 2, v[27:28]
	v_add_co_ci_u32_e32 v23, vcc_lo, s1, v23, vcc_lo
	v_add_co_u32 v24, vcc_lo, s0, v24
	v_lshlrev_b64 v[28:29], 2, v[29:30]
	v_mad_u64_u32 v[30:31], null, v47, s3, v[12:13]
	v_add_co_ci_u32_e32 v25, vcc_lo, s1, v25, vcc_lo
	v_add_co_u32 v26, vcc_lo, s0, v26
	v_add_co_ci_u32_e32 v27, vcc_lo, s1, v27, vcc_lo
	s_clause 0x1
	global_load_b32 v48, v[20:21], off
	global_load_b32 v49, v[20:21], off offset:256
	s_clause 0x4
	global_load_b32 v12, v[4:5], off
	global_load_b32 v31, v[2:3], off
	;; [unrolled: 1-line block ×5, first 2 shown]
	v_add_co_u32 v4, vcc_lo, s0, v28
	v_add_co_ci_u32_e32 v5, vcc_lo, s1, v29, vcc_lo
	v_lshlrev_b64 v[2:3], 2, v[32:33]
	s_delay_alu instid0(VALU_DEP_1) | instskip(NEXT) | instid1(VALU_DEP_2)
	v_add_co_u32 v2, vcc_lo, s0, v2
	v_add_co_ci_u32_e32 v3, vcc_lo, s1, v3, vcc_lo
	s_waitcnt vmcnt(15)
	v_dual_mul_f32 v29, s12, v38 :: v_dual_mov_b32 v36, v30
	s_waitcnt vmcnt(14)
	v_mul_f32_e32 v30, s12, v39
	s_delay_alu instid0(VALU_DEP_2) | instskip(NEXT) | instid1(VALU_DEP_1)
	v_lshlrev_b64 v[22:23], 2, v[35:36]
	v_add_co_u32 v22, vcc_lo, s0, v22
	s_delay_alu instid0(VALU_DEP_2)
	v_add_co_ci_u32_e32 v23, vcc_lo, s1, v23, vcc_lo
	s_clause 0x1
	global_load_b32 v26, v[15:16], off
	global_load_b32 v27, v[18:19], off
	s_clause 0x2
	global_load_b32 v4, v[4:5], off
	global_load_b32 v2, v[2:3], off
	;; [unrolled: 1-line block ×3, first 2 shown]
	s_clause 0x3
	global_load_b32 v5, v[6:7], off offset:256
	global_load_b32 v22, v[8:9], off offset:256
	;; [unrolled: 1-line block ×4, first 2 shown]
	s_waitcnt vmcnt(13)
	v_fmac_f32_e32 v37, v29, v12
	s_waitcnt vmcnt(12)
	v_dual_fmac_f32 v42, v29, v31 :: v_dual_fmac_f32 v43, v30, v12
	s_waitcnt vmcnt(10)
	v_fmac_f32_e32 v40, v29, v24
	s_waitcnt vmcnt(9)
	v_fmac_f32_e32 v48, v29, v25
	v_dual_fmac_f32 v44, v29, v34 :: v_dual_fmac_f32 v49, v30, v25
	v_fmac_f32_e32 v41, v30, v31
	v_fmac_f32_e32 v45, v30, v34
	global_store_b32 v[0:1], v37, off
	s_clause 0x1
	global_store_b32 v[10:11], v42, off
	global_store_b32 v[13:14], v44, off
	s_waitcnt vmcnt(6)
	v_fmac_f32_e32 v17, v29, v4
	s_waitcnt vmcnt(5)
	v_fmac_f32_e32 v26, v29, v2
	;; [unrolled: 2-line block ×7, first 2 shown]
	s_clause 0x5
	global_store_b32 v[6:7], v40, off
	global_store_b32 v[20:21], v48, off
	;; [unrolled: 1-line block ×5, first 2 shown]
	global_store_b32 v[0:1], v43, off offset:256
	s_clause 0x6
	global_store_b32 v[10:11], v41, off offset:256
	global_store_b32 v[13:14], v45, off offset:256
	;; [unrolled: 1-line block ×7, first 2 shown]
.LBB34_6:
	s_nop 0
	s_sendmsg sendmsg(MSG_DEALLOC_VGPRS)
	s_endpgm
	.section	.rodata,"a",@progbits
	.p2align	6, 0x0
	.amdhsa_kernel _ZL34rocblas_ger_double_buffered_kernelILb0ELi128ELi8ELi8Ef24rocblas_internal_val_ptrIfEPKPKfPKPfEvbiiT4_lT5_lllSA_lllT6_lmli
		.amdhsa_group_segment_fixed_size 0
		.amdhsa_private_segment_fixed_size 0
		.amdhsa_kernarg_size 132
		.amdhsa_user_sgpr_count 13
		.amdhsa_user_sgpr_dispatch_ptr 0
		.amdhsa_user_sgpr_queue_ptr 0
		.amdhsa_user_sgpr_kernarg_segment_ptr 1
		.amdhsa_user_sgpr_dispatch_id 0
		.amdhsa_user_sgpr_private_segment_size 0
		.amdhsa_wavefront_size32 1
		.amdhsa_uses_dynamic_stack 0
		.amdhsa_enable_private_segment 0
		.amdhsa_system_sgpr_workgroup_id_x 1
		.amdhsa_system_sgpr_workgroup_id_y 1
		.amdhsa_system_sgpr_workgroup_id_z 1
		.amdhsa_system_sgpr_workgroup_info 0
		.amdhsa_system_vgpr_workitem_id 1
		.amdhsa_next_free_vgpr 50
		.amdhsa_next_free_sgpr 25
		.amdhsa_reserve_vcc 1
		.amdhsa_float_round_mode_32 0
		.amdhsa_float_round_mode_16_64 0
		.amdhsa_float_denorm_mode_32 3
		.amdhsa_float_denorm_mode_16_64 3
		.amdhsa_dx10_clamp 1
		.amdhsa_ieee_mode 1
		.amdhsa_fp16_overflow 0
		.amdhsa_workgroup_processor_mode 1
		.amdhsa_memory_ordered 1
		.amdhsa_forward_progress 0
		.amdhsa_shared_vgpr_count 0
		.amdhsa_exception_fp_ieee_invalid_op 0
		.amdhsa_exception_fp_denorm_src 0
		.amdhsa_exception_fp_ieee_div_zero 0
		.amdhsa_exception_fp_ieee_overflow 0
		.amdhsa_exception_fp_ieee_underflow 0
		.amdhsa_exception_fp_ieee_inexact 0
		.amdhsa_exception_int_div_zero 0
	.end_amdhsa_kernel
	.section	.text._ZL34rocblas_ger_double_buffered_kernelILb0ELi128ELi8ELi8Ef24rocblas_internal_val_ptrIfEPKPKfPKPfEvbiiT4_lT5_lllSA_lllT6_lmli,"axG",@progbits,_ZL34rocblas_ger_double_buffered_kernelILb0ELi128ELi8ELi8Ef24rocblas_internal_val_ptrIfEPKPKfPKPfEvbiiT4_lT5_lllSA_lllT6_lmli,comdat
.Lfunc_end34:
	.size	_ZL34rocblas_ger_double_buffered_kernelILb0ELi128ELi8ELi8Ef24rocblas_internal_val_ptrIfEPKPKfPKPfEvbiiT4_lT5_lllSA_lllT6_lmli, .Lfunc_end34-_ZL34rocblas_ger_double_buffered_kernelILb0ELi128ELi8ELi8Ef24rocblas_internal_val_ptrIfEPKPKfPKPfEvbiiT4_lT5_lllSA_lllT6_lmli
                                        ; -- End function
	.section	.AMDGPU.csdata,"",@progbits
; Kernel info:
; codeLenInByte = 1684
; NumSgprs: 27
; NumVgprs: 50
; ScratchSize: 0
; MemoryBound: 0
; FloatMode: 240
; IeeeMode: 1
; LDSByteSize: 0 bytes/workgroup (compile time only)
; SGPRBlocks: 3
; VGPRBlocks: 6
; NumSGPRsForWavesPerEU: 27
; NumVGPRsForWavesPerEU: 50
; Occupancy: 16
; WaveLimiterHint : 1
; COMPUTE_PGM_RSRC2:SCRATCH_EN: 0
; COMPUTE_PGM_RSRC2:USER_SGPR: 13
; COMPUTE_PGM_RSRC2:TRAP_HANDLER: 0
; COMPUTE_PGM_RSRC2:TGID_X_EN: 1
; COMPUTE_PGM_RSRC2:TGID_Y_EN: 1
; COMPUTE_PGM_RSRC2:TGID_Z_EN: 1
; COMPUTE_PGM_RSRC2:TIDIG_COMP_CNT: 1
	.section	.text._ZL26rocblas_sger_gfx942_kernelILi256EfPKfPKS1_PKPfEviiT1_lT2_lllS8_lllT3_lll,"axG",@progbits,_ZL26rocblas_sger_gfx942_kernelILi256EfPKfPKS1_PKPfEviiT1_lT2_lllS8_lllT3_lll,comdat
	.globl	_ZL26rocblas_sger_gfx942_kernelILi256EfPKfPKS1_PKPfEviiT1_lT2_lllS8_lllT3_lll ; -- Begin function _ZL26rocblas_sger_gfx942_kernelILi256EfPKfPKS1_PKPfEviiT1_lT2_lllS8_lllT3_lll
	.p2align	8
	.type	_ZL26rocblas_sger_gfx942_kernelILi256EfPKfPKS1_PKPfEviiT1_lT2_lllS8_lllT3_lll,@function
_ZL26rocblas_sger_gfx942_kernelILi256EfPKfPKS1_PKPfEviiT1_lT2_lllS8_lllT3_lll: ; @_ZL26rocblas_sger_gfx942_kernelILi256EfPKfPKS1_PKPfEviiT1_lT2_lllS8_lllT3_lll
; %bb.0:
	s_endpgm
	.section	.rodata,"a",@progbits
	.p2align	6, 0x0
	.amdhsa_kernel _ZL26rocblas_sger_gfx942_kernelILi256EfPKfPKS1_PKPfEviiT1_lT2_lllS8_lllT3_lll
		.amdhsa_group_segment_fixed_size 0
		.amdhsa_private_segment_fixed_size 0
		.amdhsa_kernarg_size 120
		.amdhsa_user_sgpr_count 15
		.amdhsa_user_sgpr_dispatch_ptr 0
		.amdhsa_user_sgpr_queue_ptr 0
		.amdhsa_user_sgpr_kernarg_segment_ptr 1
		.amdhsa_user_sgpr_dispatch_id 0
		.amdhsa_user_sgpr_private_segment_size 0
		.amdhsa_wavefront_size32 1
		.amdhsa_uses_dynamic_stack 0
		.amdhsa_enable_private_segment 0
		.amdhsa_system_sgpr_workgroup_id_x 1
		.amdhsa_system_sgpr_workgroup_id_y 0
		.amdhsa_system_sgpr_workgroup_id_z 0
		.amdhsa_system_sgpr_workgroup_info 0
		.amdhsa_system_vgpr_workitem_id 0
		.amdhsa_next_free_vgpr 1
		.amdhsa_next_free_sgpr 1
		.amdhsa_reserve_vcc 0
		.amdhsa_float_round_mode_32 0
		.amdhsa_float_round_mode_16_64 0
		.amdhsa_float_denorm_mode_32 3
		.amdhsa_float_denorm_mode_16_64 3
		.amdhsa_dx10_clamp 1
		.amdhsa_ieee_mode 1
		.amdhsa_fp16_overflow 0
		.amdhsa_workgroup_processor_mode 1
		.amdhsa_memory_ordered 1
		.amdhsa_forward_progress 0
		.amdhsa_shared_vgpr_count 0
		.amdhsa_exception_fp_ieee_invalid_op 0
		.amdhsa_exception_fp_denorm_src 0
		.amdhsa_exception_fp_ieee_div_zero 0
		.amdhsa_exception_fp_ieee_overflow 0
		.amdhsa_exception_fp_ieee_underflow 0
		.amdhsa_exception_fp_ieee_inexact 0
		.amdhsa_exception_int_div_zero 0
	.end_amdhsa_kernel
	.section	.text._ZL26rocblas_sger_gfx942_kernelILi256EfPKfPKS1_PKPfEviiT1_lT2_lllS8_lllT3_lll,"axG",@progbits,_ZL26rocblas_sger_gfx942_kernelILi256EfPKfPKS1_PKPfEviiT1_lT2_lllS8_lllT3_lll,comdat
.Lfunc_end35:
	.size	_ZL26rocblas_sger_gfx942_kernelILi256EfPKfPKS1_PKPfEviiT1_lT2_lllS8_lllT3_lll, .Lfunc_end35-_ZL26rocblas_sger_gfx942_kernelILi256EfPKfPKS1_PKPfEviiT1_lT2_lllS8_lllT3_lll
                                        ; -- End function
	.section	.AMDGPU.csdata,"",@progbits
; Kernel info:
; codeLenInByte = 4
; NumSgprs: 0
; NumVgprs: 0
; ScratchSize: 0
; MemoryBound: 0
; FloatMode: 240
; IeeeMode: 1
; LDSByteSize: 0 bytes/workgroup (compile time only)
; SGPRBlocks: 0
; VGPRBlocks: 0
; NumSGPRsForWavesPerEU: 1
; NumVGPRsForWavesPerEU: 1
; Occupancy: 16
; WaveLimiterHint : 0
; COMPUTE_PGM_RSRC2:SCRATCH_EN: 0
; COMPUTE_PGM_RSRC2:USER_SGPR: 15
; COMPUTE_PGM_RSRC2:TRAP_HANDLER: 0
; COMPUTE_PGM_RSRC2:TGID_X_EN: 1
; COMPUTE_PGM_RSRC2:TGID_Y_EN: 0
; COMPUTE_PGM_RSRC2:TGID_Z_EN: 0
; COMPUTE_PGM_RSRC2:TIDIG_COMP_CNT: 0
	.section	.text._ZL26rocblas_sger_gfx942_kernelILi256EffPKPKfPKPfEviiT1_lT2_lllS8_lllT3_lll,"axG",@progbits,_ZL26rocblas_sger_gfx942_kernelILi256EffPKPKfPKPfEviiT1_lT2_lllS8_lllT3_lll,comdat
	.globl	_ZL26rocblas_sger_gfx942_kernelILi256EffPKPKfPKPfEviiT1_lT2_lllS8_lllT3_lll ; -- Begin function _ZL26rocblas_sger_gfx942_kernelILi256EffPKPKfPKPfEviiT1_lT2_lllS8_lllT3_lll
	.p2align	8
	.type	_ZL26rocblas_sger_gfx942_kernelILi256EffPKPKfPKPfEviiT1_lT2_lllS8_lllT3_lll,@function
_ZL26rocblas_sger_gfx942_kernelILi256EffPKPKfPKPfEviiT1_lT2_lllS8_lllT3_lll: ; @_ZL26rocblas_sger_gfx942_kernelILi256EffPKPKfPKPfEviiT1_lT2_lllS8_lllT3_lll
; %bb.0:
	s_endpgm
	.section	.rodata,"a",@progbits
	.p2align	6, 0x0
	.amdhsa_kernel _ZL26rocblas_sger_gfx942_kernelILi256EffPKPKfPKPfEviiT1_lT2_lllS8_lllT3_lll
		.amdhsa_group_segment_fixed_size 0
		.amdhsa_private_segment_fixed_size 0
		.amdhsa_kernarg_size 120
		.amdhsa_user_sgpr_count 15
		.amdhsa_user_sgpr_dispatch_ptr 0
		.amdhsa_user_sgpr_queue_ptr 0
		.amdhsa_user_sgpr_kernarg_segment_ptr 1
		.amdhsa_user_sgpr_dispatch_id 0
		.amdhsa_user_sgpr_private_segment_size 0
		.amdhsa_wavefront_size32 1
		.amdhsa_uses_dynamic_stack 0
		.amdhsa_enable_private_segment 0
		.amdhsa_system_sgpr_workgroup_id_x 1
		.amdhsa_system_sgpr_workgroup_id_y 0
		.amdhsa_system_sgpr_workgroup_id_z 0
		.amdhsa_system_sgpr_workgroup_info 0
		.amdhsa_system_vgpr_workitem_id 0
		.amdhsa_next_free_vgpr 1
		.amdhsa_next_free_sgpr 1
		.amdhsa_reserve_vcc 0
		.amdhsa_float_round_mode_32 0
		.amdhsa_float_round_mode_16_64 0
		.amdhsa_float_denorm_mode_32 3
		.amdhsa_float_denorm_mode_16_64 3
		.amdhsa_dx10_clamp 1
		.amdhsa_ieee_mode 1
		.amdhsa_fp16_overflow 0
		.amdhsa_workgroup_processor_mode 1
		.amdhsa_memory_ordered 1
		.amdhsa_forward_progress 0
		.amdhsa_shared_vgpr_count 0
		.amdhsa_exception_fp_ieee_invalid_op 0
		.amdhsa_exception_fp_denorm_src 0
		.amdhsa_exception_fp_ieee_div_zero 0
		.amdhsa_exception_fp_ieee_overflow 0
		.amdhsa_exception_fp_ieee_underflow 0
		.amdhsa_exception_fp_ieee_inexact 0
		.amdhsa_exception_int_div_zero 0
	.end_amdhsa_kernel
	.section	.text._ZL26rocblas_sger_gfx942_kernelILi256EffPKPKfPKPfEviiT1_lT2_lllS8_lllT3_lll,"axG",@progbits,_ZL26rocblas_sger_gfx942_kernelILi256EffPKPKfPKPfEviiT1_lT2_lllS8_lllT3_lll,comdat
.Lfunc_end36:
	.size	_ZL26rocblas_sger_gfx942_kernelILi256EffPKPKfPKPfEviiT1_lT2_lllS8_lllT3_lll, .Lfunc_end36-_ZL26rocblas_sger_gfx942_kernelILi256EffPKPKfPKPfEviiT1_lT2_lllS8_lllT3_lll
                                        ; -- End function
	.section	.AMDGPU.csdata,"",@progbits
; Kernel info:
; codeLenInByte = 4
; NumSgprs: 0
; NumVgprs: 0
; ScratchSize: 0
; MemoryBound: 0
; FloatMode: 240
; IeeeMode: 1
; LDSByteSize: 0 bytes/workgroup (compile time only)
; SGPRBlocks: 0
; VGPRBlocks: 0
; NumSGPRsForWavesPerEU: 1
; NumVGPRsForWavesPerEU: 1
; Occupancy: 16
; WaveLimiterHint : 0
; COMPUTE_PGM_RSRC2:SCRATCH_EN: 0
; COMPUTE_PGM_RSRC2:USER_SGPR: 15
; COMPUTE_PGM_RSRC2:TRAP_HANDLER: 0
; COMPUTE_PGM_RSRC2:TGID_X_EN: 1
; COMPUTE_PGM_RSRC2:TGID_Y_EN: 0
; COMPUTE_PGM_RSRC2:TGID_Z_EN: 0
; COMPUTE_PGM_RSRC2:TIDIG_COMP_CNT: 0
	.section	.text._ZL19rocblas_sger_kernelILi1024EfPKfPKS1_PKPfEviiT1_lT2_lllS8_lllT3_lmli,"axG",@progbits,_ZL19rocblas_sger_kernelILi1024EfPKfPKS1_PKPfEviiT1_lT2_lllS8_lllT3_lmli,comdat
	.globl	_ZL19rocblas_sger_kernelILi1024EfPKfPKS1_PKPfEviiT1_lT2_lllS8_lllT3_lmli ; -- Begin function _ZL19rocblas_sger_kernelILi1024EfPKfPKS1_PKPfEviiT1_lT2_lllS8_lllT3_lmli
	.p2align	8
	.type	_ZL19rocblas_sger_kernelILi1024EfPKfPKS1_PKPfEviiT1_lT2_lllS8_lllT3_lmli,@function
_ZL19rocblas_sger_kernelILi1024EfPKfPKS1_PKPfEviiT1_lT2_lllS8_lllT3_lmli: ; @_ZL19rocblas_sger_kernelILi1024EfPKfPKS1_PKPfEviiT1_lT2_lllS8_lllT3_lmli
; %bb.0:
	s_load_b128 s[4:7], s[0:1], 0x8
	s_waitcnt lgkmcnt(0)
	s_mul_i32 s3, s15, s7
	s_mul_hi_u32 s7, s15, s6
	s_mul_i32 s6, s15, s6
	s_add_i32 s7, s7, s3
	s_delay_alu instid0(SALU_CYCLE_1) | instskip(NEXT) | instid1(SALU_CYCLE_1)
	s_lshl_b64 s[6:7], s[6:7], 2
	s_add_u32 s4, s4, s6
	s_addc_u32 s5, s5, s7
	s_load_b32 s13, s[4:5], 0x0
	s_waitcnt lgkmcnt(0)
	v_cmp_eq_f32_e64 s3, s13, 0
	s_delay_alu instid0(VALU_DEP_1)
	s_and_b32 vcc_lo, exec_lo, s3
	s_mov_b32 s3, 0
	s_cbranch_vccnz .LBB37_4
; %bb.1:
	s_load_b32 s12, s[0:1], 0x0
	s_waitcnt lgkmcnt(0)
	v_cmp_gt_i32_e32 vcc_lo, s12, v0
	s_and_saveexec_b32 s4, vcc_lo
	s_cbranch_execz .LBB37_4
; %bb.2:
	s_clause 0x2
	s_load_b64 s[16:17], s[0:1], 0x18
	s_load_b64 s[18:19], s[0:1], 0x38
	s_load_b128 s[4:7], s[0:1], 0x20
	s_mov_b32 s2, s15
	s_load_b128 s[8:11], s[0:1], 0x40
	s_lshl_b64 s[20:21], s[2:3], 3
	s_waitcnt lgkmcnt(0)
	s_add_u32 s16, s16, s20
	s_addc_u32 s17, s17, s21
	s_add_u32 s2, s18, s20
	s_addc_u32 s3, s19, s21
	s_lshl_b64 s[8:9], s[8:9], 2
	s_load_b64 s[18:19], s[2:3], 0x0
	s_clause 0x1
	s_load_b64 s[22:23], s[0:1], 0x58
	s_load_b128 s[0:3], s[0:1], 0x60
	s_mul_i32 s11, s14, s11
	v_mad_u64_u32 v[1:2], null, s6, v0, 0
	s_delay_alu instid0(VALU_DEP_1) | instskip(SKIP_1) | instid1(VALU_DEP_1)
	v_mad_u64_u32 v[3:4], null, s7, v0, v[2:3]
	v_cndmask_b32_e32 v4, 0, v0, vcc_lo
	v_lshlrev_b32_e32 v5, 2, v4
	s_waitcnt lgkmcnt(0)
	s_add_u32 s15, s18, s8
	s_addc_u32 s24, s19, s9
	s_add_u32 s8, s22, s20
	s_addc_u32 s9, s23, s21
	s_lshl_b64 s[0:1], s[0:1], 2
	s_load_b64 s[8:9], s[8:9], 0x0
	s_mul_i32 s3, s14, s3
	s_mul_hi_u32 s19, s14, s2
	s_mul_i32 s18, s14, s2
	v_mov_b32_e32 v2, v3
	s_delay_alu instid0(VALU_DEP_1)
	v_lshlrev_b64 v[3:4], 2, v[1:2]
	s_waitcnt lgkmcnt(0)
	s_add_u32 s8, s8, s0
	s_addc_u32 s9, s9, s1
	s_ashr_i32 s20, s14, 31
	s_add_i32 s0, s19, s3
	s_mul_i32 s1, s20, s2
	s_mul_hi_u32 s2, s14, s10
	s_add_i32 s19, s0, s1
	s_mul_i32 s20, s20, s10
	s_lshl_b64 s[0:1], s[18:19], 2
	s_delay_alu instid0(SALU_CYCLE_1)
	s_add_u32 s8, s0, s8
	s_addc_u32 s9, s1, s9
	s_add_i32 s1, s2, s11
	s_mul_i32 s0, s14, s10
	s_add_i32 s1, s1, s20
	s_load_b64 s[2:3], s[16:17], 0x0
	s_lshl_b64 s[0:1], s[0:1], 2
	s_delay_alu instid0(SALU_CYCLE_1) | instskip(SKIP_4) | instid1(VALU_DEP_1)
	s_add_u32 s0, s15, s0
	s_addc_u32 s1, s24, s1
	s_load_b32 s10, s[0:1], 0x0
	s_lshl_b64 s[0:1], s[4:5], 2
	v_add_co_u32 v1, s4, s8, v5
	v_add_co_ci_u32_e64 v2, null, s9, 0, s4
	s_waitcnt lgkmcnt(0)
	s_add_u32 s0, s2, s0
	s_addc_u32 s1, s3, s1
	v_add_co_u32 v3, vcc_lo, s0, v3
	v_add_co_ci_u32_e32 v4, vcc_lo, s1, v4, vcc_lo
	v_mul_f32_e64 v5, s13, s10
	s_mov_b32 s1, 0
	s_lshl_b64 s[2:3], s[6:7], 12
	.p2align	6
.LBB37_3:                               ; =>This Inner Loop Header: Depth=1
	global_load_b32 v6, v[3:4], off
	global_load_b32 v7, v[1:2], off
	v_add_nc_u32_e32 v0, 0x400, v0
	v_add_co_u32 v3, vcc_lo, v3, s2
	v_add_co_ci_u32_e32 v4, vcc_lo, s3, v4, vcc_lo
	s_waitcnt vmcnt(0)
	v_fmac_f32_e32 v7, v5, v6
	v_cmp_le_i32_e32 vcc_lo, s12, v0
	global_store_b32 v[1:2], v7, off
	v_add_co_u32 v1, s0, 0x1000, v1
	s_delay_alu instid0(VALU_DEP_1) | instskip(SKIP_1) | instid1(SALU_CYCLE_1)
	v_add_co_ci_u32_e64 v2, s0, 0, v2, s0
	s_or_b32 s1, vcc_lo, s1
	s_and_not1_b32 exec_lo, exec_lo, s1
	s_cbranch_execnz .LBB37_3
.LBB37_4:
	s_nop 0
	s_sendmsg sendmsg(MSG_DEALLOC_VGPRS)
	s_endpgm
	.section	.rodata,"a",@progbits
	.p2align	6, 0x0
	.amdhsa_kernel _ZL19rocblas_sger_kernelILi1024EfPKfPKS1_PKPfEviiT1_lT2_lllS8_lllT3_lmli
		.amdhsa_group_segment_fixed_size 0
		.amdhsa_private_segment_fixed_size 0
		.amdhsa_kernarg_size 124
		.amdhsa_user_sgpr_count 14
		.amdhsa_user_sgpr_dispatch_ptr 0
		.amdhsa_user_sgpr_queue_ptr 0
		.amdhsa_user_sgpr_kernarg_segment_ptr 1
		.amdhsa_user_sgpr_dispatch_id 0
		.amdhsa_user_sgpr_private_segment_size 0
		.amdhsa_wavefront_size32 1
		.amdhsa_uses_dynamic_stack 0
		.amdhsa_enable_private_segment 0
		.amdhsa_system_sgpr_workgroup_id_x 1
		.amdhsa_system_sgpr_workgroup_id_y 0
		.amdhsa_system_sgpr_workgroup_id_z 1
		.amdhsa_system_sgpr_workgroup_info 0
		.amdhsa_system_vgpr_workitem_id 0
		.amdhsa_next_free_vgpr 8
		.amdhsa_next_free_sgpr 25
		.amdhsa_reserve_vcc 1
		.amdhsa_float_round_mode_32 0
		.amdhsa_float_round_mode_16_64 0
		.amdhsa_float_denorm_mode_32 3
		.amdhsa_float_denorm_mode_16_64 3
		.amdhsa_dx10_clamp 1
		.amdhsa_ieee_mode 1
		.amdhsa_fp16_overflow 0
		.amdhsa_workgroup_processor_mode 1
		.amdhsa_memory_ordered 1
		.amdhsa_forward_progress 0
		.amdhsa_shared_vgpr_count 0
		.amdhsa_exception_fp_ieee_invalid_op 0
		.amdhsa_exception_fp_denorm_src 0
		.amdhsa_exception_fp_ieee_div_zero 0
		.amdhsa_exception_fp_ieee_overflow 0
		.amdhsa_exception_fp_ieee_underflow 0
		.amdhsa_exception_fp_ieee_inexact 0
		.amdhsa_exception_int_div_zero 0
	.end_amdhsa_kernel
	.section	.text._ZL19rocblas_sger_kernelILi1024EfPKfPKS1_PKPfEviiT1_lT2_lllS8_lllT3_lmli,"axG",@progbits,_ZL19rocblas_sger_kernelILi1024EfPKfPKS1_PKPfEviiT1_lT2_lllS8_lllT3_lmli,comdat
.Lfunc_end37:
	.size	_ZL19rocblas_sger_kernelILi1024EfPKfPKS1_PKPfEviiT1_lT2_lllS8_lllT3_lmli, .Lfunc_end37-_ZL19rocblas_sger_kernelILi1024EfPKfPKS1_PKPfEviiT1_lT2_lllS8_lllT3_lmli
                                        ; -- End function
	.section	.AMDGPU.csdata,"",@progbits
; Kernel info:
; codeLenInByte = 552
; NumSgprs: 27
; NumVgprs: 8
; ScratchSize: 0
; MemoryBound: 0
; FloatMode: 240
; IeeeMode: 1
; LDSByteSize: 0 bytes/workgroup (compile time only)
; SGPRBlocks: 3
; VGPRBlocks: 0
; NumSGPRsForWavesPerEU: 27
; NumVGPRsForWavesPerEU: 8
; Occupancy: 16
; WaveLimiterHint : 1
; COMPUTE_PGM_RSRC2:SCRATCH_EN: 0
; COMPUTE_PGM_RSRC2:USER_SGPR: 14
; COMPUTE_PGM_RSRC2:TRAP_HANDLER: 0
; COMPUTE_PGM_RSRC2:TGID_X_EN: 1
; COMPUTE_PGM_RSRC2:TGID_Y_EN: 0
; COMPUTE_PGM_RSRC2:TGID_Z_EN: 1
; COMPUTE_PGM_RSRC2:TIDIG_COMP_CNT: 0
	.section	.text._ZL19rocblas_sger_kernelILi1024EffPKPKfPKPfEviiT1_lT2_lllS8_lllT3_lmli,"axG",@progbits,_ZL19rocblas_sger_kernelILi1024EffPKPKfPKPfEviiT1_lT2_lllS8_lllT3_lmli,comdat
	.globl	_ZL19rocblas_sger_kernelILi1024EffPKPKfPKPfEviiT1_lT2_lllS8_lllT3_lmli ; -- Begin function _ZL19rocblas_sger_kernelILi1024EffPKPKfPKPfEviiT1_lT2_lllS8_lllT3_lmli
	.p2align	8
	.type	_ZL19rocblas_sger_kernelILi1024EffPKPKfPKPfEviiT1_lT2_lllS8_lllT3_lmli,@function
_ZL19rocblas_sger_kernelILi1024EffPKPKfPKPfEviiT1_lT2_lllS8_lllT3_lmli: ; @_ZL19rocblas_sger_kernelILi1024EffPKPKfPKPfEviiT1_lT2_lllS8_lllT3_lmli
; %bb.0:
	s_load_b32 s13, s[0:1], 0x8
	s_waitcnt lgkmcnt(0)
	v_cmp_eq_f32_e64 s3, s13, 0
	s_delay_alu instid0(VALU_DEP_1)
	s_and_b32 vcc_lo, exec_lo, s3
	s_cbranch_vccnz .LBB38_4
; %bb.1:
	s_load_b32 s12, s[0:1], 0x0
	s_waitcnt lgkmcnt(0)
	v_cmp_gt_i32_e32 vcc_lo, s12, v0
	s_and_saveexec_b32 s3, vcc_lo
	s_cbranch_execz .LBB38_4
; %bb.2:
	s_clause 0x1
	s_load_b64 s[16:17], s[0:1], 0x18
	s_load_b64 s[18:19], s[0:1], 0x38
	s_mov_b32 s2, s15
	s_mov_b32 s3, 0
	s_clause 0x1
	s_load_b128 s[4:7], s[0:1], 0x20
	s_load_b128 s[8:11], s[0:1], 0x40
	s_lshl_b64 s[20:21], s[2:3], 3
	s_waitcnt lgkmcnt(0)
	s_add_u32 s22, s16, s20
	s_addc_u32 s23, s17, s21
	s_add_u32 s16, s18, s20
	s_addc_u32 s17, s19, s21
	v_mad_u64_u32 v[1:2], null, s6, v0, 0
	s_load_b64 s[24:25], s[16:17], 0x0
	s_load_b64 s[26:27], s[0:1], 0x58
	s_lshl_b64 s[8:9], s[8:9], 2
	s_load_b128 s[16:19], s[0:1], 0x60
	s_mul_i32 s11, s14, s11
	s_delay_alu instid0(VALU_DEP_1) | instskip(SKIP_1) | instid1(VALU_DEP_1)
	v_mad_u64_u32 v[3:4], null, s7, v0, v[2:3]
	v_cndmask_b32_e32 v4, 0, v0, vcc_lo
	v_dual_mov_b32 v2, v3 :: v_dual_lshlrev_b32 v5, 2, v4
	s_delay_alu instid0(VALU_DEP_1)
	v_lshlrev_b64 v[3:4], 2, v[1:2]
	s_waitcnt lgkmcnt(0)
	s_add_u32 s2, s24, s8
	s_addc_u32 s15, s25, s9
	s_add_u32 s0, s26, s20
	s_addc_u32 s1, s27, s21
	s_lshl_b64 s[16:17], s[16:17], 2
	s_load_b64 s[0:1], s[0:1], 0x0
	s_mul_i32 s9, s14, s19
	s_mul_hi_u32 s19, s14, s18
	s_mul_i32 s8, s14, s18
	s_waitcnt lgkmcnt(0)
	s_add_u32 s16, s0, s16
	s_addc_u32 s17, s1, s17
	s_ashr_i32 s20, s14, 31
	s_add_i32 s0, s19, s9
	s_mul_i32 s1, s20, s18
	s_mul_hi_u32 s18, s14, s10
	s_add_i32 s9, s0, s1
	s_mul_i32 s20, s20, s10
	s_lshl_b64 s[0:1], s[8:9], 2
	s_load_b64 s[8:9], s[22:23], 0x0
	s_add_u32 s16, s0, s16
	s_addc_u32 s17, s1, s17
	s_add_i32 s1, s18, s11
	s_mul_i32 s0, s14, s10
	s_add_i32 s1, s1, s20
	s_delay_alu instid0(SALU_CYCLE_1) | instskip(NEXT) | instid1(SALU_CYCLE_1)
	s_lshl_b64 s[0:1], s[0:1], 2
	s_add_u32 s0, s2, s0
	s_addc_u32 s1, s15, s1
	s_load_b32 s2, s[0:1], 0x0
	s_lshl_b64 s[0:1], s[4:5], 2
	v_add_co_u32 v1, s4, s16, v5
	s_delay_alu instid0(VALU_DEP_1)
	v_add_co_ci_u32_e64 v2, null, s17, 0, s4
	s_waitcnt lgkmcnt(0)
	s_add_u32 s0, s8, s0
	s_addc_u32 s1, s9, s1
	v_add_co_u32 v3, vcc_lo, s0, v3
	v_add_co_ci_u32_e32 v4, vcc_lo, s1, v4, vcc_lo
	s_lshl_b64 s[4:5], s[6:7], 12
	v_mul_f32_e64 v5, s2, s13
	.p2align	6
.LBB38_3:                               ; =>This Inner Loop Header: Depth=1
	global_load_b32 v6, v[3:4], off
	global_load_b32 v7, v[1:2], off
	v_add_nc_u32_e32 v0, 0x400, v0
	v_add_co_u32 v3, vcc_lo, v3, s4
	v_add_co_ci_u32_e32 v4, vcc_lo, s5, v4, vcc_lo
	s_waitcnt vmcnt(0)
	v_fmac_f32_e32 v7, v5, v6
	v_cmp_le_i32_e32 vcc_lo, s12, v0
	global_store_b32 v[1:2], v7, off
	v_add_co_u32 v1, s0, 0x1000, v1
	s_delay_alu instid0(VALU_DEP_1) | instskip(SKIP_1) | instid1(SALU_CYCLE_1)
	v_add_co_ci_u32_e64 v2, s0, 0, v2, s0
	s_or_b32 s3, vcc_lo, s3
	s_and_not1_b32 exec_lo, exec_lo, s3
	s_cbranch_execnz .LBB38_3
.LBB38_4:
	s_nop 0
	s_sendmsg sendmsg(MSG_DEALLOC_VGPRS)
	s_endpgm
	.section	.rodata,"a",@progbits
	.p2align	6, 0x0
	.amdhsa_kernel _ZL19rocblas_sger_kernelILi1024EffPKPKfPKPfEviiT1_lT2_lllS8_lllT3_lmli
		.amdhsa_group_segment_fixed_size 0
		.amdhsa_private_segment_fixed_size 0
		.amdhsa_kernarg_size 124
		.amdhsa_user_sgpr_count 14
		.amdhsa_user_sgpr_dispatch_ptr 0
		.amdhsa_user_sgpr_queue_ptr 0
		.amdhsa_user_sgpr_kernarg_segment_ptr 1
		.amdhsa_user_sgpr_dispatch_id 0
		.amdhsa_user_sgpr_private_segment_size 0
		.amdhsa_wavefront_size32 1
		.amdhsa_uses_dynamic_stack 0
		.amdhsa_enable_private_segment 0
		.amdhsa_system_sgpr_workgroup_id_x 1
		.amdhsa_system_sgpr_workgroup_id_y 0
		.amdhsa_system_sgpr_workgroup_id_z 1
		.amdhsa_system_sgpr_workgroup_info 0
		.amdhsa_system_vgpr_workitem_id 0
		.amdhsa_next_free_vgpr 8
		.amdhsa_next_free_sgpr 28
		.amdhsa_reserve_vcc 1
		.amdhsa_float_round_mode_32 0
		.amdhsa_float_round_mode_16_64 0
		.amdhsa_float_denorm_mode_32 3
		.amdhsa_float_denorm_mode_16_64 3
		.amdhsa_dx10_clamp 1
		.amdhsa_ieee_mode 1
		.amdhsa_fp16_overflow 0
		.amdhsa_workgroup_processor_mode 1
		.amdhsa_memory_ordered 1
		.amdhsa_forward_progress 0
		.amdhsa_shared_vgpr_count 0
		.amdhsa_exception_fp_ieee_invalid_op 0
		.amdhsa_exception_fp_denorm_src 0
		.amdhsa_exception_fp_ieee_div_zero 0
		.amdhsa_exception_fp_ieee_overflow 0
		.amdhsa_exception_fp_ieee_underflow 0
		.amdhsa_exception_fp_ieee_inexact 0
		.amdhsa_exception_int_div_zero 0
	.end_amdhsa_kernel
	.section	.text._ZL19rocblas_sger_kernelILi1024EffPKPKfPKPfEviiT1_lT2_lllS8_lllT3_lmli,"axG",@progbits,_ZL19rocblas_sger_kernelILi1024EffPKPKfPKPfEviiT1_lT2_lllS8_lllT3_lmli,comdat
.Lfunc_end38:
	.size	_ZL19rocblas_sger_kernelILi1024EffPKPKfPKPfEviiT1_lT2_lllS8_lllT3_lmli, .Lfunc_end38-_ZL19rocblas_sger_kernelILi1024EffPKPKfPKPfEviiT1_lT2_lllS8_lllT3_lmli
                                        ; -- End function
	.section	.AMDGPU.csdata,"",@progbits
; Kernel info:
; codeLenInByte = 504
; NumSgprs: 30
; NumVgprs: 8
; ScratchSize: 0
; MemoryBound: 0
; FloatMode: 240
; IeeeMode: 1
; LDSByteSize: 0 bytes/workgroup (compile time only)
; SGPRBlocks: 3
; VGPRBlocks: 0
; NumSGPRsForWavesPerEU: 30
; NumVGPRsForWavesPerEU: 8
; Occupancy: 16
; WaveLimiterHint : 1
; COMPUTE_PGM_RSRC2:SCRATCH_EN: 0
; COMPUTE_PGM_RSRC2:USER_SGPR: 14
; COMPUTE_PGM_RSRC2:TRAP_HANDLER: 0
; COMPUTE_PGM_RSRC2:TGID_X_EN: 1
; COMPUTE_PGM_RSRC2:TGID_Y_EN: 0
; COMPUTE_PGM_RSRC2:TGID_Z_EN: 1
; COMPUTE_PGM_RSRC2:TIDIG_COMP_CNT: 0
	.section	.text._ZL18rocblas_ger_kernelILi32ELi32ELi2ELb0EfPKfPKS1_PKPfEviiT4_lT5_lllS8_lllT6_lmli,"axG",@progbits,_ZL18rocblas_ger_kernelILi32ELi32ELi2ELb0EfPKfPKS1_PKPfEviiT4_lT5_lllS8_lllT6_lmli,comdat
	.globl	_ZL18rocblas_ger_kernelILi32ELi32ELi2ELb0EfPKfPKS1_PKPfEviiT4_lT5_lllS8_lllT6_lmli ; -- Begin function _ZL18rocblas_ger_kernelILi32ELi32ELi2ELb0EfPKfPKS1_PKPfEviiT4_lT5_lllS8_lllT6_lmli
	.p2align	8
	.type	_ZL18rocblas_ger_kernelILi32ELi32ELi2ELb0EfPKfPKS1_PKPfEviiT4_lT5_lllS8_lllT6_lmli,@function
_ZL18rocblas_ger_kernelILi32ELi32ELi2ELb0EfPKfPKS1_PKPfEviiT4_lT5_lllS8_lllT6_lmli: ; @_ZL18rocblas_ger_kernelILi32ELi32ELi2ELb0EfPKfPKS1_PKPfEviiT4_lT5_lllS8_lllT6_lmli
; %bb.0:
	s_clause 0x1
	s_load_b64 s[4:5], s[0:1], 0x0
	s_load_b128 s[8:11], s[0:1], 0x8
	s_waitcnt lgkmcnt(0)
	s_add_i32 s3, s4, -1
	s_mul_i32 s7, s15, s11
	s_ashr_i32 s6, s3, 31
	s_mul_hi_u32 s11, s15, s10
	s_lshr_b32 s6, s6, 27
	s_add_i32 s11, s11, s7
	s_add_i32 s3, s3, s6
	s_mul_i32 s10, s15, s10
	s_ashr_i32 s7, s3, 5
	s_lshl_b64 s[10:11], s[10:11], 2
	s_add_i32 s6, s7, 1
	s_add_u32 s8, s8, s10
	v_cvt_f32_u32_e32 v1, s6
	s_addc_u32 s9, s9, s11
	s_load_b32 s10, s[8:9], 0x0
	s_delay_alu instid0(VALU_DEP_1) | instskip(SKIP_2) | instid1(VALU_DEP_1)
	v_rcp_iflag_f32_e32 v1, v1
	s_waitcnt_depctr 0xfff
	v_mul_f32_e32 v1, 0x4f7ffffe, v1
	v_cvt_u32_f32_e32 v1, v1
	s_waitcnt lgkmcnt(0)
	v_cmp_eq_f32_e64 s3, s10, 0
	s_delay_alu instid0(VALU_DEP_2) | instskip(NEXT) | instid1(VALU_DEP_2)
	v_readfirstlane_b32 s8, v1
	s_and_b32 vcc_lo, exec_lo, s3
	s_mov_b32 s3, 0
	s_cbranch_vccnz .LBB39_14
; %bb.1:
	s_not_b32 s7, s7
	s_clause 0x1
	s_load_b64 s[12:13], s[0:1], 0x38
	s_load_b64 s[16:17], s[0:1], 0x58
	s_mul_i32 s7, s7, s8
	s_mov_b32 s2, s15
	s_mul_hi_u32 s7, s8, s7
	v_and_b32_e32 v1, 0x3ff, v0
	s_add_i32 s8, s8, s7
	v_bfe_u32 v2, v0, 10, 10
	s_mul_hi_u32 s7, s14, s8
	s_delay_alu instid0(SALU_CYCLE_1) | instskip(SKIP_2) | instid1(SALU_CYCLE_1)
	s_mul_i32 s8, s7, s6
	s_add_i32 s9, s7, 1
	s_sub_i32 s8, s14, s8
	s_sub_i32 s11, s8, s6
	s_cmp_ge_u32 s8, s6
	s_cselect_b32 s7, s9, s7
	s_cselect_b32 s8, s11, s8
	s_add_i32 s9, s7, 1
	s_cmp_ge_u32 s8, s6
	s_cselect_b32 s11, s9, s7
	s_lshl_b64 s[8:9], s[2:3], 3
	s_mul_i32 s6, s11, s6
	s_delay_alu instid0(SALU_CYCLE_1)
	s_sub_i32 s14, s14, s6
	s_waitcnt lgkmcnt(0)
	s_add_u32 s2, s12, s8
	s_addc_u32 s3, s13, s9
	s_add_u32 s6, s16, s8
	s_addc_u32 s7, s17, s9
	s_load_b64 s[2:3], s[2:3], 0x0
	s_load_b64 s[6:7], s[6:7], 0x0
	v_lshl_add_u32 v0, s14, 5, v1
	s_mov_b32 s12, exec_lo
	v_cmpx_eq_u32_e32 0, v2
	s_cbranch_execz .LBB39_5
; %bb.2:
	v_mov_b32_e32 v3, 0
	s_mov_b32 s13, exec_lo
	v_cmpx_gt_i32_e64 s4, v0
	s_cbranch_execz .LBB39_4
; %bb.3:
	s_clause 0x1
	s_load_b64 s[14:15], s[0:1], 0x18
	s_load_b128 s[16:19], s[0:1], 0x20
	v_ashrrev_i32_e32 v3, 31, v0
	s_waitcnt lgkmcnt(0)
	s_add_u32 s8, s14, s8
	s_addc_u32 s9, s15, s9
	v_mul_lo_u32 v5, v0, s19
	s_load_b64 s[8:9], s[8:9], 0x0
	v_mul_lo_u32 v6, v3, s18
	v_mad_u64_u32 v[3:4], null, v0, s18, 0
	s_lshl_b64 s[14:15], s[16:17], 2
	s_delay_alu instid0(VALU_DEP_1) | instskip(NEXT) | instid1(VALU_DEP_1)
	v_add3_u32 v4, v4, v5, v6
	v_lshlrev_b64 v[3:4], 2, v[3:4]
	s_waitcnt lgkmcnt(0)
	s_add_u32 s8, s8, s14
	s_addc_u32 s9, s9, s15
	s_delay_alu instid0(VALU_DEP_1) | instskip(NEXT) | instid1(VALU_DEP_2)
	v_add_co_u32 v3, vcc_lo, s8, v3
	v_add_co_ci_u32_e32 v4, vcc_lo, s9, v4, vcc_lo
	global_load_b32 v3, v[3:4], off
.LBB39_4:
	s_or_b32 exec_lo, exec_lo, s13
	v_lshlrev_b32_e32 v4, 2, v1
	s_waitcnt vmcnt(0)
	ds_store_b32 v4, v3 offset:256
.LBB39_5:
	s_or_b32 exec_lo, exec_lo, s12
	v_lshlrev_b32_e32 v3, 1, v2
	s_mov_b32 s8, exec_lo
	s_delay_alu instid0(VALU_DEP_1)
	v_lshl_add_u32 v2, s11, 6, v3
	v_cmpx_gt_u32_e32 2, v1
	s_cbranch_execz .LBB39_9
; %bb.6:
	s_delay_alu instid0(VALU_DEP_2) | instskip(SKIP_2) | instid1(VALU_DEP_2)
	v_or_b32_e32 v4, v2, v1
	v_mov_b32_e32 v5, 0
	s_mov_b32 s9, exec_lo
	v_cmpx_gt_u32_e64 s5, v4
	s_cbranch_execz .LBB39_8
; %bb.7:
	s_load_b128 s[12:15], s[0:1], 0x40
	s_waitcnt lgkmcnt(0)
	v_mad_u64_u32 v[5:6], null, v4, s14, 0
	s_lshl_b64 s[12:13], s[12:13], 2
	s_delay_alu instid0(SALU_CYCLE_1) | instskip(SKIP_1) | instid1(VALU_DEP_1)
	s_add_u32 s2, s2, s12
	s_addc_u32 s3, s3, s13
	v_mad_u64_u32 v[7:8], null, v4, s15, v[6:7]
	s_delay_alu instid0(VALU_DEP_1) | instskip(NEXT) | instid1(VALU_DEP_1)
	v_mov_b32_e32 v6, v7
	v_lshlrev_b64 v[4:5], 2, v[5:6]
	s_delay_alu instid0(VALU_DEP_1) | instskip(NEXT) | instid1(VALU_DEP_2)
	v_add_co_u32 v4, vcc_lo, s2, v4
	v_add_co_ci_u32_e32 v5, vcc_lo, s3, v5, vcc_lo
	global_load_b32 v5, v[4:5], off
.LBB39_8:
	s_or_b32 exec_lo, exec_lo, s9
	v_or_b32_e32 v4, v3, v1
	s_delay_alu instid0(VALU_DEP_1)
	v_lshlrev_b32_e32 v4, 2, v4
	s_waitcnt vmcnt(0)
	ds_store_b32 v4, v5
.LBB39_9:
	s_or_b32 exec_lo, exec_lo, s8
	s_waitcnt lgkmcnt(0)
	s_barrier
	buffer_gl0_inv
	s_mov_b32 s2, exec_lo
	v_cmpx_gt_i32_e64 s4, v0
	s_cbranch_execz .LBB39_14
; %bb.10:
	s_load_b128 s[0:3], s[0:1], 0x60
	v_lshlrev_b32_e32 v1, 2, v1
	ds_load_b32 v6, v1 offset:256
	v_ashrrev_i32_e32 v1, 31, v0
	s_delay_alu instid0(VALU_DEP_1) | instskip(SKIP_3) | instid1(SALU_CYCLE_1)
	v_lshlrev_b64 v[4:5], 2, v[0:1]
	v_lshlrev_b32_e32 v1, 2, v3
	s_waitcnt lgkmcnt(0)
	s_lshl_b64 s[0:1], s[0:1], 2
	s_add_u32 s0, s6, s0
	s_addc_u32 s1, s7, s1
	v_add_co_u32 v4, s0, s0, v4
	v_mul_f32_e32 v0, s10, v6
	v_add_co_ci_u32_e64 v5, s0, s1, v5, s0
	s_mov_b32 s0, exec_lo
	v_cmpx_gt_i32_e64 s5, v2
	s_cbranch_execz .LBB39_12
; %bb.11:
	v_ashrrev_i32_e32 v3, 31, v2
	v_mul_lo_u32 v8, v2, s3
	v_mad_u64_u32 v[6:7], null, v2, s2, 0
	s_delay_alu instid0(VALU_DEP_3) | instskip(NEXT) | instid1(VALU_DEP_1)
	v_mul_lo_u32 v3, v3, s2
	v_add3_u32 v7, v7, v8, v3
	ds_load_b32 v8, v1
	v_lshlrev_b64 v[6:7], 2, v[6:7]
	s_delay_alu instid0(VALU_DEP_1) | instskip(NEXT) | instid1(VALU_DEP_2)
	v_add_co_u32 v6, vcc_lo, v4, v6
	v_add_co_ci_u32_e32 v7, vcc_lo, v5, v7, vcc_lo
	global_load_b32 v3, v[6:7], off
	s_waitcnt vmcnt(0) lgkmcnt(0)
	v_fmac_f32_e32 v3, v0, v8
	global_store_b32 v[6:7], v3, off
.LBB39_12:
	s_or_b32 exec_lo, exec_lo, s0
	v_or_b32_e32 v2, 1, v2
	s_delay_alu instid0(VALU_DEP_1)
	v_cmp_gt_i32_e32 vcc_lo, s5, v2
	s_and_b32 exec_lo, exec_lo, vcc_lo
	s_cbranch_execz .LBB39_14
; %bb.13:
	v_ashrrev_i32_e32 v3, 31, v2
	v_mul_lo_u32 v8, v2, s3
	v_mad_u64_u32 v[6:7], null, v2, s2, 0
	ds_load_b32 v1, v1 offset:4
	v_mul_lo_u32 v2, v3, s2
	s_delay_alu instid0(VALU_DEP_1) | instskip(NEXT) | instid1(VALU_DEP_1)
	v_add3_u32 v7, v7, v8, v2
	v_lshlrev_b64 v[2:3], 2, v[6:7]
	s_delay_alu instid0(VALU_DEP_1) | instskip(NEXT) | instid1(VALU_DEP_2)
	v_add_co_u32 v2, vcc_lo, v4, v2
	v_add_co_ci_u32_e32 v3, vcc_lo, v5, v3, vcc_lo
	global_load_b32 v4, v[2:3], off
	s_waitcnt vmcnt(0) lgkmcnt(0)
	v_fmac_f32_e32 v4, v0, v1
	global_store_b32 v[2:3], v4, off
.LBB39_14:
	s_nop 0
	s_sendmsg sendmsg(MSG_DEALLOC_VGPRS)
	s_endpgm
	.section	.rodata,"a",@progbits
	.p2align	6, 0x0
	.amdhsa_kernel _ZL18rocblas_ger_kernelILi32ELi32ELi2ELb0EfPKfPKS1_PKPfEviiT4_lT5_lllS8_lllT6_lmli
		.amdhsa_group_segment_fixed_size 384
		.amdhsa_private_segment_fixed_size 0
		.amdhsa_kernarg_size 124
		.amdhsa_user_sgpr_count 14
		.amdhsa_user_sgpr_dispatch_ptr 0
		.amdhsa_user_sgpr_queue_ptr 0
		.amdhsa_user_sgpr_kernarg_segment_ptr 1
		.amdhsa_user_sgpr_dispatch_id 0
		.amdhsa_user_sgpr_private_segment_size 0
		.amdhsa_wavefront_size32 1
		.amdhsa_uses_dynamic_stack 0
		.amdhsa_enable_private_segment 0
		.amdhsa_system_sgpr_workgroup_id_x 1
		.amdhsa_system_sgpr_workgroup_id_y 0
		.amdhsa_system_sgpr_workgroup_id_z 1
		.amdhsa_system_sgpr_workgroup_info 0
		.amdhsa_system_vgpr_workitem_id 1
		.amdhsa_next_free_vgpr 9
		.amdhsa_next_free_sgpr 20
		.amdhsa_reserve_vcc 1
		.amdhsa_float_round_mode_32 0
		.amdhsa_float_round_mode_16_64 0
		.amdhsa_float_denorm_mode_32 3
		.amdhsa_float_denorm_mode_16_64 3
		.amdhsa_dx10_clamp 1
		.amdhsa_ieee_mode 1
		.amdhsa_fp16_overflow 0
		.amdhsa_workgroup_processor_mode 1
		.amdhsa_memory_ordered 1
		.amdhsa_forward_progress 0
		.amdhsa_shared_vgpr_count 0
		.amdhsa_exception_fp_ieee_invalid_op 0
		.amdhsa_exception_fp_denorm_src 0
		.amdhsa_exception_fp_ieee_div_zero 0
		.amdhsa_exception_fp_ieee_overflow 0
		.amdhsa_exception_fp_ieee_underflow 0
		.amdhsa_exception_fp_ieee_inexact 0
		.amdhsa_exception_int_div_zero 0
	.end_amdhsa_kernel
	.section	.text._ZL18rocblas_ger_kernelILi32ELi32ELi2ELb0EfPKfPKS1_PKPfEviiT4_lT5_lllS8_lllT6_lmli,"axG",@progbits,_ZL18rocblas_ger_kernelILi32ELi32ELi2ELb0EfPKfPKS1_PKPfEviiT4_lT5_lllS8_lllT6_lmli,comdat
.Lfunc_end39:
	.size	_ZL18rocblas_ger_kernelILi32ELi32ELi2ELb0EfPKfPKS1_PKPfEviiT4_lT5_lllS8_lllT6_lmli, .Lfunc_end39-_ZL18rocblas_ger_kernelILi32ELi32ELi2ELb0EfPKfPKS1_PKPfEviiT4_lT5_lllS8_lllT6_lmli
                                        ; -- End function
	.section	.AMDGPU.csdata,"",@progbits
; Kernel info:
; codeLenInByte = 1016
; NumSgprs: 22
; NumVgprs: 9
; ScratchSize: 0
; MemoryBound: 0
; FloatMode: 240
; IeeeMode: 1
; LDSByteSize: 384 bytes/workgroup (compile time only)
; SGPRBlocks: 2
; VGPRBlocks: 1
; NumSGPRsForWavesPerEU: 22
; NumVGPRsForWavesPerEU: 9
; Occupancy: 16
; WaveLimiterHint : 1
; COMPUTE_PGM_RSRC2:SCRATCH_EN: 0
; COMPUTE_PGM_RSRC2:USER_SGPR: 14
; COMPUTE_PGM_RSRC2:TRAP_HANDLER: 0
; COMPUTE_PGM_RSRC2:TGID_X_EN: 1
; COMPUTE_PGM_RSRC2:TGID_Y_EN: 0
; COMPUTE_PGM_RSRC2:TGID_Z_EN: 1
; COMPUTE_PGM_RSRC2:TIDIG_COMP_CNT: 1
	.section	.text._ZL18rocblas_ger_kernelILi32ELi32ELi2ELb0EffPKPKfPKPfEviiT4_lT5_lllS8_lllT6_lmli,"axG",@progbits,_ZL18rocblas_ger_kernelILi32ELi32ELi2ELb0EffPKPKfPKPfEviiT4_lT5_lllS8_lllT6_lmli,comdat
	.globl	_ZL18rocblas_ger_kernelILi32ELi32ELi2ELb0EffPKPKfPKPfEviiT4_lT5_lllS8_lllT6_lmli ; -- Begin function _ZL18rocblas_ger_kernelILi32ELi32ELi2ELb0EffPKPKfPKPfEviiT4_lT5_lllS8_lllT6_lmli
	.p2align	8
	.type	_ZL18rocblas_ger_kernelILi32ELi32ELi2ELb0EffPKPKfPKPfEviiT4_lT5_lllS8_lllT6_lmli,@function
_ZL18rocblas_ger_kernelILi32ELi32ELi2ELb0EffPKPKfPKPfEviiT4_lT5_lllS8_lllT6_lmli: ; @_ZL18rocblas_ger_kernelILi32ELi32ELi2ELb0EffPKPKfPKPfEviiT4_lT5_lllS8_lllT6_lmli
; %bb.0:
	s_load_b128 s[4:7], s[0:1], 0x0
	s_waitcnt lgkmcnt(0)
	s_add_i32 s3, s4, -1
	s_delay_alu instid0(SALU_CYCLE_1) | instskip(NEXT) | instid1(SALU_CYCLE_1)
	s_ashr_i32 s7, s3, 31
	s_lshr_b32 s7, s7, 27
	s_delay_alu instid0(SALU_CYCLE_1) | instskip(NEXT) | instid1(SALU_CYCLE_1)
	s_add_i32 s3, s3, s7
	s_ashr_i32 s7, s3, 5
	v_cmp_eq_f32_e64 s3, s6, 0
	s_add_i32 s8, s7, 1
	s_delay_alu instid0(SALU_CYCLE_1) | instskip(NEXT) | instid1(VALU_DEP_2)
	v_cvt_f32_u32_e32 v1, s8
	s_and_b32 vcc_lo, exec_lo, s3
	s_mov_b32 s3, 0
	s_delay_alu instid0(VALU_DEP_1) | instskip(SKIP_2) | instid1(VALU_DEP_1)
	v_rcp_iflag_f32_e32 v1, v1
	s_waitcnt_depctr 0xfff
	v_mul_f32_e32 v1, 0x4f7ffffe, v1
	v_cvt_u32_f32_e32 v1, v1
	s_delay_alu instid0(VALU_DEP_1)
	v_readfirstlane_b32 s9, v1
	s_cbranch_vccnz .LBB40_14
; %bb.1:
	s_not_b32 s7, s7
	s_clause 0x1
	s_load_b64 s[12:13], s[0:1], 0x38
	s_load_b64 s[16:17], s[0:1], 0x58
	s_mul_i32 s7, s7, s9
	s_mov_b32 s2, s15
	s_mul_hi_u32 s7, s9, s7
	v_and_b32_e32 v1, 0x3ff, v0
	s_add_i32 s9, s9, s7
	v_bfe_u32 v2, v0, 10, 10
	s_mul_hi_u32 s7, s14, s9
	s_delay_alu instid0(SALU_CYCLE_1) | instskip(SKIP_2) | instid1(SALU_CYCLE_1)
	s_mul_i32 s9, s7, s8
	s_add_i32 s10, s7, 1
	s_sub_i32 s9, s14, s9
	s_sub_i32 s11, s9, s8
	s_cmp_ge_u32 s9, s8
	s_cselect_b32 s7, s10, s7
	s_cselect_b32 s9, s11, s9
	s_add_i32 s10, s7, 1
	s_cmp_ge_u32 s9, s8
	s_cselect_b32 s7, s10, s7
	s_lshl_b64 s[10:11], s[2:3], 3
	s_mul_i32 s8, s7, s8
	s_delay_alu instid0(SALU_CYCLE_1)
	s_sub_i32 s14, s14, s8
	s_waitcnt lgkmcnt(0)
	s_add_u32 s2, s12, s10
	s_addc_u32 s3, s13, s11
	s_add_u32 s8, s16, s10
	s_addc_u32 s9, s17, s11
	s_load_b64 s[2:3], s[2:3], 0x0
	s_load_b64 s[8:9], s[8:9], 0x0
	v_lshl_add_u32 v0, s14, 5, v1
	s_mov_b32 s12, exec_lo
	v_cmpx_eq_u32_e32 0, v2
	s_cbranch_execz .LBB40_5
; %bb.2:
	v_mov_b32_e32 v3, 0
	s_mov_b32 s13, exec_lo
	v_cmpx_gt_i32_e64 s4, v0
	s_cbranch_execz .LBB40_4
; %bb.3:
	s_clause 0x1
	s_load_b64 s[14:15], s[0:1], 0x18
	s_load_b128 s[16:19], s[0:1], 0x20
	v_ashrrev_i32_e32 v3, 31, v0
	s_waitcnt lgkmcnt(0)
	s_add_u32 s10, s14, s10
	s_addc_u32 s11, s15, s11
	v_mul_lo_u32 v5, v0, s19
	s_load_b64 s[10:11], s[10:11], 0x0
	v_mul_lo_u32 v6, v3, s18
	v_mad_u64_u32 v[3:4], null, v0, s18, 0
	s_lshl_b64 s[14:15], s[16:17], 2
	s_delay_alu instid0(VALU_DEP_1) | instskip(NEXT) | instid1(VALU_DEP_1)
	v_add3_u32 v4, v4, v5, v6
	v_lshlrev_b64 v[3:4], 2, v[3:4]
	s_waitcnt lgkmcnt(0)
	s_add_u32 s10, s10, s14
	s_addc_u32 s11, s11, s15
	s_delay_alu instid0(VALU_DEP_1) | instskip(NEXT) | instid1(VALU_DEP_2)
	v_add_co_u32 v3, vcc_lo, s10, v3
	v_add_co_ci_u32_e32 v4, vcc_lo, s11, v4, vcc_lo
	global_load_b32 v3, v[3:4], off
.LBB40_4:
	s_or_b32 exec_lo, exec_lo, s13
	v_lshlrev_b32_e32 v4, 2, v1
	s_waitcnt vmcnt(0)
	ds_store_b32 v4, v3 offset:256
.LBB40_5:
	s_or_b32 exec_lo, exec_lo, s12
	v_lshlrev_b32_e32 v3, 1, v2
	s_delay_alu instid0(VALU_DEP_1)
	v_lshl_add_u32 v2, s7, 6, v3
	s_mov_b32 s7, exec_lo
	v_cmpx_gt_u32_e32 2, v1
	s_cbranch_execz .LBB40_9
; %bb.6:
	s_delay_alu instid0(VALU_DEP_2) | instskip(SKIP_2) | instid1(VALU_DEP_2)
	v_or_b32_e32 v4, v2, v1
	v_mov_b32_e32 v5, 0
	s_mov_b32 s10, exec_lo
	v_cmpx_gt_u32_e64 s5, v4
	s_cbranch_execz .LBB40_8
; %bb.7:
	s_load_b128 s[12:15], s[0:1], 0x40
	s_waitcnt lgkmcnt(0)
	v_mad_u64_u32 v[5:6], null, v4, s14, 0
	s_lshl_b64 s[12:13], s[12:13], 2
	s_delay_alu instid0(SALU_CYCLE_1) | instskip(SKIP_1) | instid1(VALU_DEP_1)
	s_add_u32 s2, s2, s12
	s_addc_u32 s3, s3, s13
	v_mad_u64_u32 v[7:8], null, v4, s15, v[6:7]
	s_delay_alu instid0(VALU_DEP_1) | instskip(NEXT) | instid1(VALU_DEP_1)
	v_mov_b32_e32 v6, v7
	v_lshlrev_b64 v[4:5], 2, v[5:6]
	s_delay_alu instid0(VALU_DEP_1) | instskip(NEXT) | instid1(VALU_DEP_2)
	v_add_co_u32 v4, vcc_lo, s2, v4
	v_add_co_ci_u32_e32 v5, vcc_lo, s3, v5, vcc_lo
	global_load_b32 v5, v[4:5], off
.LBB40_8:
	s_or_b32 exec_lo, exec_lo, s10
	v_or_b32_e32 v4, v3, v1
	s_delay_alu instid0(VALU_DEP_1)
	v_lshlrev_b32_e32 v4, 2, v4
	s_waitcnt vmcnt(0)
	ds_store_b32 v4, v5
.LBB40_9:
	s_or_b32 exec_lo, exec_lo, s7
	s_waitcnt lgkmcnt(0)
	s_barrier
	buffer_gl0_inv
	s_mov_b32 s2, exec_lo
	v_cmpx_gt_i32_e64 s4, v0
	s_cbranch_execz .LBB40_14
; %bb.10:
	s_load_b128 s[0:3], s[0:1], 0x60
	v_lshlrev_b32_e32 v1, 2, v1
	ds_load_b32 v6, v1 offset:256
	v_ashrrev_i32_e32 v1, 31, v0
	s_delay_alu instid0(VALU_DEP_1) | instskip(SKIP_3) | instid1(SALU_CYCLE_1)
	v_lshlrev_b64 v[4:5], 2, v[0:1]
	v_lshlrev_b32_e32 v1, 2, v3
	s_waitcnt lgkmcnt(0)
	s_lshl_b64 s[0:1], s[0:1], 2
	s_add_u32 s0, s8, s0
	s_addc_u32 s1, s9, s1
	v_add_co_u32 v4, s0, s0, v4
	v_mul_f32_e32 v0, s6, v6
	v_add_co_ci_u32_e64 v5, s0, s1, v5, s0
	s_mov_b32 s0, exec_lo
	v_cmpx_gt_i32_e64 s5, v2
	s_cbranch_execz .LBB40_12
; %bb.11:
	v_ashrrev_i32_e32 v3, 31, v2
	v_mul_lo_u32 v8, v2, s3
	v_mad_u64_u32 v[6:7], null, v2, s2, 0
	s_delay_alu instid0(VALU_DEP_3) | instskip(NEXT) | instid1(VALU_DEP_1)
	v_mul_lo_u32 v3, v3, s2
	v_add3_u32 v7, v7, v8, v3
	ds_load_b32 v8, v1
	v_lshlrev_b64 v[6:7], 2, v[6:7]
	s_delay_alu instid0(VALU_DEP_1) | instskip(NEXT) | instid1(VALU_DEP_2)
	v_add_co_u32 v6, vcc_lo, v4, v6
	v_add_co_ci_u32_e32 v7, vcc_lo, v5, v7, vcc_lo
	global_load_b32 v3, v[6:7], off
	s_waitcnt vmcnt(0) lgkmcnt(0)
	v_fmac_f32_e32 v3, v0, v8
	global_store_b32 v[6:7], v3, off
.LBB40_12:
	s_or_b32 exec_lo, exec_lo, s0
	v_or_b32_e32 v2, 1, v2
	s_delay_alu instid0(VALU_DEP_1)
	v_cmp_gt_i32_e32 vcc_lo, s5, v2
	s_and_b32 exec_lo, exec_lo, vcc_lo
	s_cbranch_execz .LBB40_14
; %bb.13:
	v_ashrrev_i32_e32 v3, 31, v2
	v_mul_lo_u32 v8, v2, s3
	v_mad_u64_u32 v[6:7], null, v2, s2, 0
	ds_load_b32 v1, v1 offset:4
	v_mul_lo_u32 v2, v3, s2
	s_delay_alu instid0(VALU_DEP_1) | instskip(NEXT) | instid1(VALU_DEP_1)
	v_add3_u32 v7, v7, v8, v2
	v_lshlrev_b64 v[2:3], 2, v[6:7]
	s_delay_alu instid0(VALU_DEP_1) | instskip(NEXT) | instid1(VALU_DEP_2)
	v_add_co_u32 v2, vcc_lo, v4, v2
	v_add_co_ci_u32_e32 v3, vcc_lo, v5, v3, vcc_lo
	global_load_b32 v4, v[2:3], off
	s_waitcnt vmcnt(0) lgkmcnt(0)
	v_fmac_f32_e32 v4, v0, v1
	global_store_b32 v[2:3], v4, off
.LBB40_14:
	s_nop 0
	s_sendmsg sendmsg(MSG_DEALLOC_VGPRS)
	s_endpgm
	.section	.rodata,"a",@progbits
	.p2align	6, 0x0
	.amdhsa_kernel _ZL18rocblas_ger_kernelILi32ELi32ELi2ELb0EffPKPKfPKPfEviiT4_lT5_lllS8_lllT6_lmli
		.amdhsa_group_segment_fixed_size 384
		.amdhsa_private_segment_fixed_size 0
		.amdhsa_kernarg_size 124
		.amdhsa_user_sgpr_count 14
		.amdhsa_user_sgpr_dispatch_ptr 0
		.amdhsa_user_sgpr_queue_ptr 0
		.amdhsa_user_sgpr_kernarg_segment_ptr 1
		.amdhsa_user_sgpr_dispatch_id 0
		.amdhsa_user_sgpr_private_segment_size 0
		.amdhsa_wavefront_size32 1
		.amdhsa_uses_dynamic_stack 0
		.amdhsa_enable_private_segment 0
		.amdhsa_system_sgpr_workgroup_id_x 1
		.amdhsa_system_sgpr_workgroup_id_y 0
		.amdhsa_system_sgpr_workgroup_id_z 1
		.amdhsa_system_sgpr_workgroup_info 0
		.amdhsa_system_vgpr_workitem_id 1
		.amdhsa_next_free_vgpr 9
		.amdhsa_next_free_sgpr 20
		.amdhsa_reserve_vcc 1
		.amdhsa_float_round_mode_32 0
		.amdhsa_float_round_mode_16_64 0
		.amdhsa_float_denorm_mode_32 3
		.amdhsa_float_denorm_mode_16_64 3
		.amdhsa_dx10_clamp 1
		.amdhsa_ieee_mode 1
		.amdhsa_fp16_overflow 0
		.amdhsa_workgroup_processor_mode 1
		.amdhsa_memory_ordered 1
		.amdhsa_forward_progress 0
		.amdhsa_shared_vgpr_count 0
		.amdhsa_exception_fp_ieee_invalid_op 0
		.amdhsa_exception_fp_denorm_src 0
		.amdhsa_exception_fp_ieee_div_zero 0
		.amdhsa_exception_fp_ieee_overflow 0
		.amdhsa_exception_fp_ieee_underflow 0
		.amdhsa_exception_fp_ieee_inexact 0
		.amdhsa_exception_int_div_zero 0
	.end_amdhsa_kernel
	.section	.text._ZL18rocblas_ger_kernelILi32ELi32ELi2ELb0EffPKPKfPKPfEviiT4_lT5_lllS8_lllT6_lmli,"axG",@progbits,_ZL18rocblas_ger_kernelILi32ELi32ELi2ELb0EffPKPKfPKPfEviiT4_lT5_lllS8_lllT6_lmli,comdat
.Lfunc_end40:
	.size	_ZL18rocblas_ger_kernelILi32ELi32ELi2ELb0EffPKPKfPKPfEviiT4_lT5_lllS8_lllT6_lmli, .Lfunc_end40-_ZL18rocblas_ger_kernelILi32ELi32ELi2ELb0EffPKPKfPKPfEviiT4_lT5_lllS8_lllT6_lmli
                                        ; -- End function
	.section	.AMDGPU.csdata,"",@progbits
; Kernel info:
; codeLenInByte = 976
; NumSgprs: 22
; NumVgprs: 9
; ScratchSize: 0
; MemoryBound: 0
; FloatMode: 240
; IeeeMode: 1
; LDSByteSize: 384 bytes/workgroup (compile time only)
; SGPRBlocks: 2
; VGPRBlocks: 1
; NumSGPRsForWavesPerEU: 22
; NumVGPRsForWavesPerEU: 9
; Occupancy: 16
; WaveLimiterHint : 1
; COMPUTE_PGM_RSRC2:SCRATCH_EN: 0
; COMPUTE_PGM_RSRC2:USER_SGPR: 14
; COMPUTE_PGM_RSRC2:TRAP_HANDLER: 0
; COMPUTE_PGM_RSRC2:TGID_X_EN: 1
; COMPUTE_PGM_RSRC2:TGID_Y_EN: 0
; COMPUTE_PGM_RSRC2:TGID_Z_EN: 1
; COMPUTE_PGM_RSRC2:TIDIG_COMP_CNT: 1
	.section	.text._ZL34rocblas_ger_double_buffered_kernelILb0ELi64ELi16ELi2Ed24rocblas_internal_val_ptrIdEPKPKdPKPdEvbiiT4_lT5_lllSA_lllT6_lmli,"axG",@progbits,_ZL34rocblas_ger_double_buffered_kernelILb0ELi64ELi16ELi2Ed24rocblas_internal_val_ptrIdEPKPKdPKPdEvbiiT4_lT5_lllSA_lllT6_lmli,comdat
	.globl	_ZL34rocblas_ger_double_buffered_kernelILb0ELi64ELi16ELi2Ed24rocblas_internal_val_ptrIdEPKPKdPKPdEvbiiT4_lT5_lllSA_lllT6_lmli ; -- Begin function _ZL34rocblas_ger_double_buffered_kernelILb0ELi64ELi16ELi2Ed24rocblas_internal_val_ptrIdEPKPKdPKPdEvbiiT4_lT5_lllSA_lllT6_lmli
	.p2align	8
	.type	_ZL34rocblas_ger_double_buffered_kernelILb0ELi64ELi16ELi2Ed24rocblas_internal_val_ptrIdEPKPKdPKPdEvbiiT4_lT5_lllSA_lllT6_lmli,@function
_ZL34rocblas_ger_double_buffered_kernelILb0ELi64ELi16ELi2Ed24rocblas_internal_val_ptrIdEPKPKdPKPdEvbiiT4_lT5_lllSA_lllT6_lmli: ; @_ZL34rocblas_ger_double_buffered_kernelILb0ELi64ELi16ELi2Ed24rocblas_internal_val_ptrIdEPKPKdPKPdEvbiiT4_lT5_lllSA_lllT6_lmli
; %bb.0:
	s_clause 0x1
	s_load_b32 s3, s[0:1], 0x0
	s_load_b128 s[4:7], s[0:1], 0x10
	s_mov_b32 s2, s15
	s_waitcnt lgkmcnt(0)
	s_bitcmp1_b32 s3, 0
	v_dual_mov_b32 v1, s4 :: v_dual_mov_b32 v2, s5
	s_cselect_b32 s3, -1, 0
	s_delay_alu instid0(SALU_CYCLE_1)
	s_and_b32 vcc_lo, exec_lo, s3
	s_cbranch_vccnz .LBB41_2
; %bb.1:
	s_mul_i32 s3, s2, s7
	s_mul_hi_u32 s7, s2, s6
	s_mul_i32 s6, s2, s6
	s_add_i32 s7, s7, s3
	s_delay_alu instid0(SALU_CYCLE_1) | instskip(NEXT) | instid1(SALU_CYCLE_1)
	s_lshl_b64 s[6:7], s[6:7], 3
	s_add_u32 s4, s4, s6
	s_addc_u32 s5, s5, s7
	s_delay_alu instid0(SALU_CYCLE_1)
	v_dual_mov_b32 v1, s4 :: v_dual_mov_b32 v2, s5
	flat_load_b64 v[1:2], v[1:2]
.LBB41_2:
	s_mov_b32 s3, exec_lo
	s_waitcnt vmcnt(0) lgkmcnt(0)
	v_cmpx_neq_f64_e32 0, v[1:2]
	s_cbranch_execz .LBB41_4
; %bb.3:
	s_clause 0x1
	s_load_b64 s[20:21], s[0:1], 0x60
	s_load_b128 s[8:11], s[0:1], 0x48
	s_mov_b32 s3, 0
	s_clause 0x1
	s_load_b128 s[4:7], s[0:1], 0x68
	s_load_b128 s[16:19], s[0:1], 0x28
	s_lshl_b64 s[2:3], s[2:3], 3
	v_and_b32_e32 v3, 0x3ff, v0
	v_bfe_u32 v0, v0, 10, 10
	s_delay_alu instid0(VALU_DEP_2) | instskip(NEXT) | instid1(VALU_DEP_2)
	v_and_b32_e32 v18, 31, v3
	v_lshl_add_u32 v0, v0, 6, v3
	s_delay_alu instid0(VALU_DEP_2) | instskip(NEXT) | instid1(VALU_DEP_2)
	v_or_b32_e32 v16, 32, v18
	v_lshrrev_b32_e32 v0, 4, v0
	s_waitcnt lgkmcnt(0)
	s_add_u32 s20, s20, s2
	s_addc_u32 s21, s21, s3
	s_lshl_b64 s[4:5], s[4:5], 3
	s_load_b64 s[20:21], s[20:21], 0x0
	s_clause 0x1
	s_load_b64 s[22:23], s[0:1], 0x40
	s_load_b64 s[0:1], s[0:1], 0x20
	v_mad_u64_u32 v[5:6], null, v18, s18, 0
	v_and_b32_e32 v17, 0x1ffe, v0
	v_or_b32_e32 v19, 1, v0
	v_mad_u64_u32 v[7:8], null, v16, s18, 0
	s_delay_alu instid0(VALU_DEP_3) | instskip(NEXT) | instid1(VALU_DEP_3)
	v_mad_u64_u32 v[3:4], null, v17, s6, 0
	v_mad_u64_u32 v[11:12], null, v19, s10, 0
	s_delay_alu instid0(VALU_DEP_2)
	v_mov_b32_e32 v0, v4
	v_mov_b32_e32 v4, v6
	s_waitcnt lgkmcnt(0)
	s_add_u32 s12, s20, s4
	s_addc_u32 s15, s21, s5
	s_add_u32 s4, s22, s2
	s_addc_u32 s5, s23, s3
	;; [unrolled: 2-line block ×3, first 2 shown]
	s_lshl_b64 s[2:3], s[16:17], 3
	s_load_b64 s[0:1], s[0:1], 0x0
	v_mad_u64_u32 v[9:10], null, v17, s10, 0
	v_mov_b32_e32 v6, v8
	s_delay_alu instid0(VALU_DEP_2)
	v_mov_b32_e32 v8, v10
	v_mov_b32_e32 v10, v12
	v_mad_u64_u32 v[12:13], null, v17, s7, v[0:1]
	v_mad_u64_u32 v[13:14], null, v18, s19, v[4:5]
	;; [unrolled: 1-line block ×4, first 2 shown]
	s_delay_alu instid0(VALU_DEP_4)
	v_mov_b32_e32 v4, v12
	s_waitcnt lgkmcnt(0)
	s_add_u32 s16, s0, s2
	s_addc_u32 s17, s1, s3
	s_lshl_b32 s0, s13, 6
	v_mov_b32_e32 v6, v13
	s_ashr_i32 s1, s0, 31
	v_mov_b32_e32 v8, v14
	s_lshl_b64 s[2:3], s[0:1], 3
	s_mul_i32 s1, s1, s18
	s_add_u32 s12, s12, s2
	s_addc_u32 s13, s15, s3
	s_lshl_b32 s14, s14, 6
	s_mul_i32 s15, s0, s19
	s_mul_i32 s2, s14, s7
	s_mul_hi_u32 s3, s14, s6
	s_ashr_i32 s19, s14, 31
	s_add_i32 s3, s3, s2
	s_mul_i32 s20, s19, s6
	s_mul_i32 s2, s14, s6
	s_add_i32 s3, s3, s20
	s_mul_hi_u32 s20, s0, s18
	s_lshl_b64 s[2:3], s[2:3], 3
	v_lshlrev_b64 v[5:6], 3, v[5:6]
	s_add_u32 s12, s12, s2
	s_addc_u32 s13, s13, s3
	s_add_i32 s2, s20, s15
	s_mul_i32 s0, s0, s18
	s_add_i32 s1, s2, s1
	v_lshlrev_b64 v[7:8], 3, v[7:8]
	s_lshl_b64 s[0:1], s[0:1], 3
	s_load_b64 s[2:3], s[4:5], 0x0
	s_add_u32 s0, s16, s0
	s_addc_u32 s1, s17, s1
	v_add_co_u32 v5, vcc_lo, s0, v5
	v_add_co_ci_u32_e32 v6, vcc_lo, s1, v6, vcc_lo
	v_add_co_u32 v7, vcc_lo, s0, v7
	v_add_co_ci_u32_e32 v8, vcc_lo, s1, v8, vcc_lo
	global_load_b64 v[5:6], v[5:6], off
	v_lshlrev_b64 v[3:4], 3, v[3:4]
	v_mad_u64_u32 v[16:17], null, v19, s11, v[10:11]
	global_load_b64 v[7:8], v[7:8], off
	v_lshlrev_b32_e32 v0, 3, v18
	v_mov_b32_e32 v10, v15
	v_add_co_u32 v3, vcc_lo, s12, v3
	v_add_co_ci_u32_e32 v4, vcc_lo, s13, v4, vcc_lo
	s_mul_i32 s1, s14, s11
	s_mul_hi_u32 s4, s14, s10
	v_mov_b32_e32 v12, v16
	s_mul_i32 s19, s19, s10
	s_add_i32 s1, s4, s1
	v_add_co_u32 v3, vcc_lo, v3, v0
	s_lshl_b64 s[4:5], s[6:7], 3
	s_lshl_b64 s[6:7], s[8:9], 3
	v_lshlrev_b64 v[9:10], 3, v[9:10]
	s_mul_i32 s0, s14, s10
	v_add_co_ci_u32_e32 v4, vcc_lo, 0, v4, vcc_lo
	s_add_i32 s1, s1, s19
	s_waitcnt lgkmcnt(0)
	s_add_u32 s2, s2, s6
	s_addc_u32 s3, s3, s7
	s_lshl_b64 s[0:1], s[0:1], 3
	v_lshlrev_b64 v[11:12], 3, v[11:12]
	v_add_co_u32 v13, vcc_lo, v3, s4
	s_add_u32 s0, s2, s0
	v_add_co_ci_u32_e32 v14, vcc_lo, s5, v4, vcc_lo
	s_addc_u32 s1, s3, s1
	v_add_co_u32 v9, vcc_lo, s0, v9
	v_add_co_ci_u32_e32 v10, vcc_lo, s1, v10, vcc_lo
	v_add_co_u32 v11, vcc_lo, s0, v11
	v_add_co_ci_u32_e32 v12, vcc_lo, s1, v12, vcc_lo
	global_load_b64 v[15:16], v[3:4], off
	global_load_b64 v[17:18], v[13:14], off offset:256
	s_clause 0x1
	global_load_b64 v[9:10], v[9:10], off
	global_load_b64 v[11:12], v[11:12], off
	s_clause 0x1
	global_load_b64 v[19:20], v[13:14], off
	global_load_b64 v[21:22], v[3:4], off offset:256
	s_waitcnt vmcnt(7)
	v_mul_f64 v[5:6], v[1:2], v[5:6]
	s_waitcnt vmcnt(6)
	v_mul_f64 v[0:1], v[1:2], v[7:8]
	s_waitcnt vmcnt(3)
	s_delay_alu instid0(VALU_DEP_2) | instskip(SKIP_3) | instid1(VALU_DEP_3)
	v_fma_f64 v[7:8], v[5:6], v[9:10], v[15:16]
	s_waitcnt vmcnt(1)
	v_fma_f64 v[5:6], v[5:6], v[11:12], v[19:20]
	s_waitcnt vmcnt(0)
	v_fma_f64 v[9:10], v[0:1], v[9:10], v[21:22]
	v_fma_f64 v[0:1], v[0:1], v[11:12], v[17:18]
	global_store_b64 v[3:4], v[7:8], off
	s_clause 0x1
	global_store_b64 v[13:14], v[5:6], off
	global_store_b64 v[3:4], v[9:10], off offset:256
	global_store_b64 v[13:14], v[0:1], off offset:256
.LBB41_4:
	s_nop 0
	s_sendmsg sendmsg(MSG_DEALLOC_VGPRS)
	s_endpgm
	.section	.rodata,"a",@progbits
	.p2align	6, 0x0
	.amdhsa_kernel _ZL34rocblas_ger_double_buffered_kernelILb0ELi64ELi16ELi2Ed24rocblas_internal_val_ptrIdEPKPKdPKPdEvbiiT4_lT5_lllSA_lllT6_lmli
		.amdhsa_group_segment_fixed_size 0
		.amdhsa_private_segment_fixed_size 0
		.amdhsa_kernarg_size 132
		.amdhsa_user_sgpr_count 13
		.amdhsa_user_sgpr_dispatch_ptr 0
		.amdhsa_user_sgpr_queue_ptr 0
		.amdhsa_user_sgpr_kernarg_segment_ptr 1
		.amdhsa_user_sgpr_dispatch_id 0
		.amdhsa_user_sgpr_private_segment_size 0
		.amdhsa_wavefront_size32 1
		.amdhsa_uses_dynamic_stack 0
		.amdhsa_enable_private_segment 0
		.amdhsa_system_sgpr_workgroup_id_x 1
		.amdhsa_system_sgpr_workgroup_id_y 1
		.amdhsa_system_sgpr_workgroup_id_z 1
		.amdhsa_system_sgpr_workgroup_info 0
		.amdhsa_system_vgpr_workitem_id 1
		.amdhsa_next_free_vgpr 23
		.amdhsa_next_free_sgpr 24
		.amdhsa_reserve_vcc 1
		.amdhsa_float_round_mode_32 0
		.amdhsa_float_round_mode_16_64 0
		.amdhsa_float_denorm_mode_32 3
		.amdhsa_float_denorm_mode_16_64 3
		.amdhsa_dx10_clamp 1
		.amdhsa_ieee_mode 1
		.amdhsa_fp16_overflow 0
		.amdhsa_workgroup_processor_mode 1
		.amdhsa_memory_ordered 1
		.amdhsa_forward_progress 0
		.amdhsa_shared_vgpr_count 0
		.amdhsa_exception_fp_ieee_invalid_op 0
		.amdhsa_exception_fp_denorm_src 0
		.amdhsa_exception_fp_ieee_div_zero 0
		.amdhsa_exception_fp_ieee_overflow 0
		.amdhsa_exception_fp_ieee_underflow 0
		.amdhsa_exception_fp_ieee_inexact 0
		.amdhsa_exception_int_div_zero 0
	.end_amdhsa_kernel
	.section	.text._ZL34rocblas_ger_double_buffered_kernelILb0ELi64ELi16ELi2Ed24rocblas_internal_val_ptrIdEPKPKdPKPdEvbiiT4_lT5_lllSA_lllT6_lmli,"axG",@progbits,_ZL34rocblas_ger_double_buffered_kernelILb0ELi64ELi16ELi2Ed24rocblas_internal_val_ptrIdEPKPKdPKPdEvbiiT4_lT5_lllSA_lllT6_lmli,comdat
.Lfunc_end41:
	.size	_ZL34rocblas_ger_double_buffered_kernelILb0ELi64ELi16ELi2Ed24rocblas_internal_val_ptrIdEPKPKdPKPdEvbiiT4_lT5_lllSA_lllT6_lmli, .Lfunc_end41-_ZL34rocblas_ger_double_buffered_kernelILb0ELi64ELi16ELi2Ed24rocblas_internal_val_ptrIdEPKPKdPKPdEvbiiT4_lT5_lllSA_lllT6_lmli
                                        ; -- End function
	.section	.AMDGPU.csdata,"",@progbits
; Kernel info:
; codeLenInByte = 944
; NumSgprs: 26
; NumVgprs: 23
; ScratchSize: 0
; MemoryBound: 0
; FloatMode: 240
; IeeeMode: 1
; LDSByteSize: 0 bytes/workgroup (compile time only)
; SGPRBlocks: 3
; VGPRBlocks: 2
; NumSGPRsForWavesPerEU: 26
; NumVGPRsForWavesPerEU: 23
; Occupancy: 16
; WaveLimiterHint : 1
; COMPUTE_PGM_RSRC2:SCRATCH_EN: 0
; COMPUTE_PGM_RSRC2:USER_SGPR: 13
; COMPUTE_PGM_RSRC2:TRAP_HANDLER: 0
; COMPUTE_PGM_RSRC2:TGID_X_EN: 1
; COMPUTE_PGM_RSRC2:TGID_Y_EN: 1
; COMPUTE_PGM_RSRC2:TGID_Z_EN: 1
; COMPUTE_PGM_RSRC2:TIDIG_COMP_CNT: 1
	.section	.text._ZL26rocblas_sger_gfx942_kernelILi256EdPKdPKS1_PKPdEviiT1_lT2_lllS8_lllT3_lll,"axG",@progbits,_ZL26rocblas_sger_gfx942_kernelILi256EdPKdPKS1_PKPdEviiT1_lT2_lllS8_lllT3_lll,comdat
	.globl	_ZL26rocblas_sger_gfx942_kernelILi256EdPKdPKS1_PKPdEviiT1_lT2_lllS8_lllT3_lll ; -- Begin function _ZL26rocblas_sger_gfx942_kernelILi256EdPKdPKS1_PKPdEviiT1_lT2_lllS8_lllT3_lll
	.p2align	8
	.type	_ZL26rocblas_sger_gfx942_kernelILi256EdPKdPKS1_PKPdEviiT1_lT2_lllS8_lllT3_lll,@function
_ZL26rocblas_sger_gfx942_kernelILi256EdPKdPKS1_PKPdEviiT1_lT2_lllS8_lllT3_lll: ; @_ZL26rocblas_sger_gfx942_kernelILi256EdPKdPKS1_PKPdEviiT1_lT2_lllS8_lllT3_lll
; %bb.0:
	s_endpgm
	.section	.rodata,"a",@progbits
	.p2align	6, 0x0
	.amdhsa_kernel _ZL26rocblas_sger_gfx942_kernelILi256EdPKdPKS1_PKPdEviiT1_lT2_lllS8_lllT3_lll
		.amdhsa_group_segment_fixed_size 0
		.amdhsa_private_segment_fixed_size 0
		.amdhsa_kernarg_size 120
		.amdhsa_user_sgpr_count 15
		.amdhsa_user_sgpr_dispatch_ptr 0
		.amdhsa_user_sgpr_queue_ptr 0
		.amdhsa_user_sgpr_kernarg_segment_ptr 1
		.amdhsa_user_sgpr_dispatch_id 0
		.amdhsa_user_sgpr_private_segment_size 0
		.amdhsa_wavefront_size32 1
		.amdhsa_uses_dynamic_stack 0
		.amdhsa_enable_private_segment 0
		.amdhsa_system_sgpr_workgroup_id_x 1
		.amdhsa_system_sgpr_workgroup_id_y 0
		.amdhsa_system_sgpr_workgroup_id_z 0
		.amdhsa_system_sgpr_workgroup_info 0
		.amdhsa_system_vgpr_workitem_id 0
		.amdhsa_next_free_vgpr 1
		.amdhsa_next_free_sgpr 1
		.amdhsa_reserve_vcc 0
		.amdhsa_float_round_mode_32 0
		.amdhsa_float_round_mode_16_64 0
		.amdhsa_float_denorm_mode_32 3
		.amdhsa_float_denorm_mode_16_64 3
		.amdhsa_dx10_clamp 1
		.amdhsa_ieee_mode 1
		.amdhsa_fp16_overflow 0
		.amdhsa_workgroup_processor_mode 1
		.amdhsa_memory_ordered 1
		.amdhsa_forward_progress 0
		.amdhsa_shared_vgpr_count 0
		.amdhsa_exception_fp_ieee_invalid_op 0
		.amdhsa_exception_fp_denorm_src 0
		.amdhsa_exception_fp_ieee_div_zero 0
		.amdhsa_exception_fp_ieee_overflow 0
		.amdhsa_exception_fp_ieee_underflow 0
		.amdhsa_exception_fp_ieee_inexact 0
		.amdhsa_exception_int_div_zero 0
	.end_amdhsa_kernel
	.section	.text._ZL26rocblas_sger_gfx942_kernelILi256EdPKdPKS1_PKPdEviiT1_lT2_lllS8_lllT3_lll,"axG",@progbits,_ZL26rocblas_sger_gfx942_kernelILi256EdPKdPKS1_PKPdEviiT1_lT2_lllS8_lllT3_lll,comdat
.Lfunc_end42:
	.size	_ZL26rocblas_sger_gfx942_kernelILi256EdPKdPKS1_PKPdEviiT1_lT2_lllS8_lllT3_lll, .Lfunc_end42-_ZL26rocblas_sger_gfx942_kernelILi256EdPKdPKS1_PKPdEviiT1_lT2_lllS8_lllT3_lll
                                        ; -- End function
	.section	.AMDGPU.csdata,"",@progbits
; Kernel info:
; codeLenInByte = 4
; NumSgprs: 0
; NumVgprs: 0
; ScratchSize: 0
; MemoryBound: 0
; FloatMode: 240
; IeeeMode: 1
; LDSByteSize: 0 bytes/workgroup (compile time only)
; SGPRBlocks: 0
; VGPRBlocks: 0
; NumSGPRsForWavesPerEU: 1
; NumVGPRsForWavesPerEU: 1
; Occupancy: 16
; WaveLimiterHint : 0
; COMPUTE_PGM_RSRC2:SCRATCH_EN: 0
; COMPUTE_PGM_RSRC2:USER_SGPR: 15
; COMPUTE_PGM_RSRC2:TRAP_HANDLER: 0
; COMPUTE_PGM_RSRC2:TGID_X_EN: 1
; COMPUTE_PGM_RSRC2:TGID_Y_EN: 0
; COMPUTE_PGM_RSRC2:TGID_Z_EN: 0
; COMPUTE_PGM_RSRC2:TIDIG_COMP_CNT: 0
	.section	.text._ZL26rocblas_sger_gfx942_kernelILi256EddPKPKdPKPdEviiT1_lT2_lllS8_lllT3_lll,"axG",@progbits,_ZL26rocblas_sger_gfx942_kernelILi256EddPKPKdPKPdEviiT1_lT2_lllS8_lllT3_lll,comdat
	.globl	_ZL26rocblas_sger_gfx942_kernelILi256EddPKPKdPKPdEviiT1_lT2_lllS8_lllT3_lll ; -- Begin function _ZL26rocblas_sger_gfx942_kernelILi256EddPKPKdPKPdEviiT1_lT2_lllS8_lllT3_lll
	.p2align	8
	.type	_ZL26rocblas_sger_gfx942_kernelILi256EddPKPKdPKPdEviiT1_lT2_lllS8_lllT3_lll,@function
_ZL26rocblas_sger_gfx942_kernelILi256EddPKPKdPKPdEviiT1_lT2_lllS8_lllT3_lll: ; @_ZL26rocblas_sger_gfx942_kernelILi256EddPKPKdPKPdEviiT1_lT2_lllS8_lllT3_lll
; %bb.0:
	s_endpgm
	.section	.rodata,"a",@progbits
	.p2align	6, 0x0
	.amdhsa_kernel _ZL26rocblas_sger_gfx942_kernelILi256EddPKPKdPKPdEviiT1_lT2_lllS8_lllT3_lll
		.amdhsa_group_segment_fixed_size 0
		.amdhsa_private_segment_fixed_size 0
		.amdhsa_kernarg_size 120
		.amdhsa_user_sgpr_count 15
		.amdhsa_user_sgpr_dispatch_ptr 0
		.amdhsa_user_sgpr_queue_ptr 0
		.amdhsa_user_sgpr_kernarg_segment_ptr 1
		.amdhsa_user_sgpr_dispatch_id 0
		.amdhsa_user_sgpr_private_segment_size 0
		.amdhsa_wavefront_size32 1
		.amdhsa_uses_dynamic_stack 0
		.amdhsa_enable_private_segment 0
		.amdhsa_system_sgpr_workgroup_id_x 1
		.amdhsa_system_sgpr_workgroup_id_y 0
		.amdhsa_system_sgpr_workgroup_id_z 0
		.amdhsa_system_sgpr_workgroup_info 0
		.amdhsa_system_vgpr_workitem_id 0
		.amdhsa_next_free_vgpr 1
		.amdhsa_next_free_sgpr 1
		.amdhsa_reserve_vcc 0
		.amdhsa_float_round_mode_32 0
		.amdhsa_float_round_mode_16_64 0
		.amdhsa_float_denorm_mode_32 3
		.amdhsa_float_denorm_mode_16_64 3
		.amdhsa_dx10_clamp 1
		.amdhsa_ieee_mode 1
		.amdhsa_fp16_overflow 0
		.amdhsa_workgroup_processor_mode 1
		.amdhsa_memory_ordered 1
		.amdhsa_forward_progress 0
		.amdhsa_shared_vgpr_count 0
		.amdhsa_exception_fp_ieee_invalid_op 0
		.amdhsa_exception_fp_denorm_src 0
		.amdhsa_exception_fp_ieee_div_zero 0
		.amdhsa_exception_fp_ieee_overflow 0
		.amdhsa_exception_fp_ieee_underflow 0
		.amdhsa_exception_fp_ieee_inexact 0
		.amdhsa_exception_int_div_zero 0
	.end_amdhsa_kernel
	.section	.text._ZL26rocblas_sger_gfx942_kernelILi256EddPKPKdPKPdEviiT1_lT2_lllS8_lllT3_lll,"axG",@progbits,_ZL26rocblas_sger_gfx942_kernelILi256EddPKPKdPKPdEviiT1_lT2_lllS8_lllT3_lll,comdat
.Lfunc_end43:
	.size	_ZL26rocblas_sger_gfx942_kernelILi256EddPKPKdPKPdEviiT1_lT2_lllS8_lllT3_lll, .Lfunc_end43-_ZL26rocblas_sger_gfx942_kernelILi256EddPKPKdPKPdEviiT1_lT2_lllS8_lllT3_lll
                                        ; -- End function
	.section	.AMDGPU.csdata,"",@progbits
; Kernel info:
; codeLenInByte = 4
; NumSgprs: 0
; NumVgprs: 0
; ScratchSize: 0
; MemoryBound: 0
; FloatMode: 240
; IeeeMode: 1
; LDSByteSize: 0 bytes/workgroup (compile time only)
; SGPRBlocks: 0
; VGPRBlocks: 0
; NumSGPRsForWavesPerEU: 1
; NumVGPRsForWavesPerEU: 1
; Occupancy: 16
; WaveLimiterHint : 0
; COMPUTE_PGM_RSRC2:SCRATCH_EN: 0
; COMPUTE_PGM_RSRC2:USER_SGPR: 15
; COMPUTE_PGM_RSRC2:TRAP_HANDLER: 0
; COMPUTE_PGM_RSRC2:TGID_X_EN: 1
; COMPUTE_PGM_RSRC2:TGID_Y_EN: 0
; COMPUTE_PGM_RSRC2:TGID_Z_EN: 0
; COMPUTE_PGM_RSRC2:TIDIG_COMP_CNT: 0
	.section	.text._ZL19rocblas_sger_kernelILi1024EdPKdPKS1_PKPdEviiT1_lT2_lllS8_lllT3_lmli,"axG",@progbits,_ZL19rocblas_sger_kernelILi1024EdPKdPKS1_PKPdEviiT1_lT2_lllS8_lllT3_lmli,comdat
	.globl	_ZL19rocblas_sger_kernelILi1024EdPKdPKS1_PKPdEviiT1_lT2_lllS8_lllT3_lmli ; -- Begin function _ZL19rocblas_sger_kernelILi1024EdPKdPKS1_PKPdEviiT1_lT2_lllS8_lllT3_lmli
	.p2align	8
	.type	_ZL19rocblas_sger_kernelILi1024EdPKdPKS1_PKPdEviiT1_lT2_lllS8_lllT3_lmli,@function
_ZL19rocblas_sger_kernelILi1024EdPKdPKS1_PKPdEviiT1_lT2_lllS8_lllT3_lmli: ; @_ZL19rocblas_sger_kernelILi1024EdPKdPKS1_PKPdEviiT1_lT2_lllS8_lllT3_lmli
; %bb.0:
	s_load_b128 s[4:7], s[0:1], 0x8
	s_waitcnt lgkmcnt(0)
	s_mul_i32 s3, s15, s7
	s_mul_hi_u32 s7, s15, s6
	s_mul_i32 s6, s15, s6
	s_add_i32 s7, s7, s3
	s_delay_alu instid0(SALU_CYCLE_1) | instskip(NEXT) | instid1(SALU_CYCLE_1)
	s_lshl_b64 s[6:7], s[6:7], 3
	s_add_u32 s4, s4, s6
	s_addc_u32 s5, s5, s7
	s_load_b64 s[12:13], s[4:5], 0x0
	s_waitcnt lgkmcnt(0)
	v_cmp_eq_f64_e64 s3, s[12:13], 0
	s_delay_alu instid0(VALU_DEP_1)
	s_and_b32 vcc_lo, exec_lo, s3
	s_cbranch_vccnz .LBB44_4
; %bb.1:
	s_mov_b32 s2, s15
	s_load_b32 s15, s[0:1], 0x0
	s_waitcnt lgkmcnt(0)
	v_cmp_gt_i32_e32 vcc_lo, s15, v0
	s_and_saveexec_b32 s3, vcc_lo
	s_cbranch_execz .LBB44_4
; %bb.2:
	s_clause 0x1
	s_load_b64 s[16:17], s[0:1], 0x18
	s_load_b64 s[18:19], s[0:1], 0x38
	s_mov_b32 s3, 0
	s_clause 0x1
	s_load_b128 s[4:7], s[0:1], 0x20
	s_load_b128 s[8:11], s[0:1], 0x40
	s_lshl_b64 s[20:21], s[2:3], 3
	s_waitcnt lgkmcnt(0)
	s_add_u32 s22, s16, s20
	s_addc_u32 s23, s17, s21
	s_add_u32 s16, s18, s20
	s_addc_u32 s17, s19, s21
	s_lshl_b64 s[8:9], s[8:9], 3
	s_load_b64 s[24:25], s[16:17], 0x0
	s_clause 0x1
	s_load_b64 s[26:27], s[0:1], 0x58
	s_load_b128 s[16:19], s[0:1], 0x60
	s_mul_i32 s11, s14, s11
	v_mad_u64_u32 v[3:4], null, s6, v0, 0
	s_delay_alu instid0(VALU_DEP_1) | instskip(SKIP_1) | instid1(VALU_DEP_1)
	v_mad_u64_u32 v[5:6], null, s7, v0, v[4:5]
	v_cndmask_b32_e32 v6, 0, v0, vcc_lo
	v_lshlrev_b32_e32 v7, 3, v6
	s_waitcnt lgkmcnt(0)
	s_add_u32 s2, s24, s8
	s_addc_u32 s24, s25, s9
	s_add_u32 s0, s26, s20
	s_addc_u32 s1, s27, s21
	s_lshl_b64 s[8:9], s[16:17], 3
	s_load_b64 s[0:1], s[0:1], 0x0
	s_mul_i32 s19, s14, s19
	s_mul_hi_u32 s20, s14, s18
	s_mul_i32 s16, s14, s18
	v_mov_b32_e32 v4, v5
	s_delay_alu instid0(VALU_DEP_1)
	v_lshlrev_b64 v[5:6], 3, v[3:4]
	s_waitcnt lgkmcnt(0)
	s_add_u32 s8, s0, s8
	s_addc_u32 s9, s1, s9
	s_ashr_i32 s21, s14, 31
	s_add_i32 s0, s20, s19
	s_mul_i32 s1, s21, s18
	s_mul_hi_u32 s18, s14, s10
	s_add_i32 s17, s0, s1
	s_mul_i32 s21, s21, s10
	s_lshl_b64 s[0:1], s[16:17], 3
	s_delay_alu instid0(SALU_CYCLE_1) | instskip(SKIP_2) | instid1(SALU_CYCLE_1)
	s_add_u32 s8, s0, s8
	s_addc_u32 s9, s1, s9
	s_add_i32 s0, s18, s11
	s_add_i32 s1, s0, s21
	s_mul_i32 s0, s14, s10
	s_delay_alu instid0(SALU_CYCLE_1) | instskip(NEXT) | instid1(SALU_CYCLE_1)
	s_lshl_b64 s[0:1], s[0:1], 3
	s_add_u32 s0, s2, s0
	s_addc_u32 s1, s24, s1
	s_lshl_b64 s[4:5], s[4:5], 3
	s_load_b64 s[0:1], s[0:1], 0x0
	v_add_co_u32 v3, s2, s8, v7
	s_delay_alu instid0(VALU_DEP_1)
	v_add_co_ci_u32_e64 v4, null, s9, 0, s2
	s_waitcnt lgkmcnt(0)
	v_mul_f64 v[1:2], s[12:13], s[0:1]
	s_load_b64 s[0:1], s[22:23], 0x0
	s_waitcnt lgkmcnt(0)
	s_add_u32 s0, s0, s4
	s_addc_u32 s1, s1, s5
	v_add_co_u32 v5, vcc_lo, s0, v5
	v_add_co_ci_u32_e32 v6, vcc_lo, s1, v6, vcc_lo
	s_lshl_b64 s[4:5], s[6:7], 13
	.p2align	6
.LBB44_3:                               ; =>This Inner Loop Header: Depth=1
	global_load_b64 v[7:8], v[5:6], off
	global_load_b64 v[9:10], v[3:4], off
	v_add_nc_u32_e32 v0, 0x400, v0
	v_add_co_u32 v5, vcc_lo, v5, s4
	v_add_co_ci_u32_e32 v6, vcc_lo, s5, v6, vcc_lo
	s_delay_alu instid0(VALU_DEP_3)
	v_cmp_le_i32_e32 vcc_lo, s15, v0
	s_or_b32 s3, vcc_lo, s3
	s_waitcnt vmcnt(0)
	v_fma_f64 v[7:8], v[1:2], v[7:8], v[9:10]
	global_store_b64 v[3:4], v[7:8], off
	v_add_co_u32 v3, s0, 0x2000, v3
	s_delay_alu instid0(VALU_DEP_1)
	v_add_co_ci_u32_e64 v4, s0, 0, v4, s0
	s_and_not1_b32 exec_lo, exec_lo, s3
	s_cbranch_execnz .LBB44_3
.LBB44_4:
	s_nop 0
	s_sendmsg sendmsg(MSG_DEALLOC_VGPRS)
	s_endpgm
	.section	.rodata,"a",@progbits
	.p2align	6, 0x0
	.amdhsa_kernel _ZL19rocblas_sger_kernelILi1024EdPKdPKS1_PKPdEviiT1_lT2_lllS8_lllT3_lmli
		.amdhsa_group_segment_fixed_size 0
		.amdhsa_private_segment_fixed_size 0
		.amdhsa_kernarg_size 124
		.amdhsa_user_sgpr_count 14
		.amdhsa_user_sgpr_dispatch_ptr 0
		.amdhsa_user_sgpr_queue_ptr 0
		.amdhsa_user_sgpr_kernarg_segment_ptr 1
		.amdhsa_user_sgpr_dispatch_id 0
		.amdhsa_user_sgpr_private_segment_size 0
		.amdhsa_wavefront_size32 1
		.amdhsa_uses_dynamic_stack 0
		.amdhsa_enable_private_segment 0
		.amdhsa_system_sgpr_workgroup_id_x 1
		.amdhsa_system_sgpr_workgroup_id_y 0
		.amdhsa_system_sgpr_workgroup_id_z 1
		.amdhsa_system_sgpr_workgroup_info 0
		.amdhsa_system_vgpr_workitem_id 0
		.amdhsa_next_free_vgpr 11
		.amdhsa_next_free_sgpr 28
		.amdhsa_reserve_vcc 1
		.amdhsa_float_round_mode_32 0
		.amdhsa_float_round_mode_16_64 0
		.amdhsa_float_denorm_mode_32 3
		.amdhsa_float_denorm_mode_16_64 3
		.amdhsa_dx10_clamp 1
		.amdhsa_ieee_mode 1
		.amdhsa_fp16_overflow 0
		.amdhsa_workgroup_processor_mode 1
		.amdhsa_memory_ordered 1
		.amdhsa_forward_progress 0
		.amdhsa_shared_vgpr_count 0
		.amdhsa_exception_fp_ieee_invalid_op 0
		.amdhsa_exception_fp_denorm_src 0
		.amdhsa_exception_fp_ieee_div_zero 0
		.amdhsa_exception_fp_ieee_overflow 0
		.amdhsa_exception_fp_ieee_underflow 0
		.amdhsa_exception_fp_ieee_inexact 0
		.amdhsa_exception_int_div_zero 0
	.end_amdhsa_kernel
	.section	.text._ZL19rocblas_sger_kernelILi1024EdPKdPKS1_PKPdEviiT1_lT2_lllS8_lllT3_lmli,"axG",@progbits,_ZL19rocblas_sger_kernelILi1024EdPKdPKS1_PKPdEviiT1_lT2_lllS8_lllT3_lmli,comdat
.Lfunc_end44:
	.size	_ZL19rocblas_sger_kernelILi1024EdPKdPKS1_PKPdEviiT1_lT2_lllS8_lllT3_lmli, .Lfunc_end44-_ZL19rocblas_sger_kernelILi1024EdPKdPKS1_PKPdEviiT1_lT2_lllS8_lllT3_lmli
                                        ; -- End function
	.section	.AMDGPU.csdata,"",@progbits
; Kernel info:
; codeLenInByte = 568
; NumSgprs: 30
; NumVgprs: 11
; ScratchSize: 0
; MemoryBound: 0
; FloatMode: 240
; IeeeMode: 1
; LDSByteSize: 0 bytes/workgroup (compile time only)
; SGPRBlocks: 3
; VGPRBlocks: 1
; NumSGPRsForWavesPerEU: 30
; NumVGPRsForWavesPerEU: 11
; Occupancy: 16
; WaveLimiterHint : 1
; COMPUTE_PGM_RSRC2:SCRATCH_EN: 0
; COMPUTE_PGM_RSRC2:USER_SGPR: 14
; COMPUTE_PGM_RSRC2:TRAP_HANDLER: 0
; COMPUTE_PGM_RSRC2:TGID_X_EN: 1
; COMPUTE_PGM_RSRC2:TGID_Y_EN: 0
; COMPUTE_PGM_RSRC2:TGID_Z_EN: 1
; COMPUTE_PGM_RSRC2:TIDIG_COMP_CNT: 0
	.section	.text._ZL19rocblas_sger_kernelILi1024EddPKPKdPKPdEviiT1_lT2_lllS8_lllT3_lmli,"axG",@progbits,_ZL19rocblas_sger_kernelILi1024EddPKPKdPKPdEviiT1_lT2_lllS8_lllT3_lmli,comdat
	.globl	_ZL19rocblas_sger_kernelILi1024EddPKPKdPKPdEviiT1_lT2_lllS8_lllT3_lmli ; -- Begin function _ZL19rocblas_sger_kernelILi1024EddPKPKdPKPdEviiT1_lT2_lllS8_lllT3_lmli
	.p2align	8
	.type	_ZL19rocblas_sger_kernelILi1024EddPKPKdPKPdEviiT1_lT2_lllS8_lllT3_lmli,@function
_ZL19rocblas_sger_kernelILi1024EddPKPKdPKPdEviiT1_lT2_lllS8_lllT3_lmli: ; @_ZL19rocblas_sger_kernelILi1024EddPKPKdPKPdEviiT1_lT2_lllS8_lllT3_lmli
; %bb.0:
	s_load_b64 s[12:13], s[0:1], 0x8
	s_waitcnt lgkmcnt(0)
	v_cmp_eq_f64_e64 s3, s[12:13], 0
	s_delay_alu instid0(VALU_DEP_1)
	s_and_b32 vcc_lo, exec_lo, s3
	s_cbranch_vccnz .LBB45_4
; %bb.1:
	s_mov_b32 s2, s15
	s_load_b32 s15, s[0:1], 0x0
	s_waitcnt lgkmcnt(0)
	v_cmp_gt_i32_e32 vcc_lo, s15, v0
	s_and_saveexec_b32 s3, vcc_lo
	s_cbranch_execz .LBB45_4
; %bb.2:
	s_clause 0x1
	s_load_b64 s[16:17], s[0:1], 0x18
	s_load_b64 s[18:19], s[0:1], 0x38
	s_mov_b32 s3, 0
	s_clause 0x1
	s_load_b128 s[4:7], s[0:1], 0x20
	s_load_b128 s[8:11], s[0:1], 0x40
	s_lshl_b64 s[20:21], s[2:3], 3
	s_waitcnt lgkmcnt(0)
	s_add_u32 s22, s16, s20
	s_addc_u32 s23, s17, s21
	s_add_u32 s16, s18, s20
	s_addc_u32 s17, s19, s21
	s_lshl_b64 s[8:9], s[8:9], 3
	s_load_b64 s[24:25], s[16:17], 0x0
	s_clause 0x1
	s_load_b64 s[26:27], s[0:1], 0x58
	s_load_b128 s[16:19], s[0:1], 0x60
	s_mul_i32 s11, s14, s11
	v_mad_u64_u32 v[3:4], null, s6, v0, 0
	s_delay_alu instid0(VALU_DEP_1) | instskip(SKIP_1) | instid1(VALU_DEP_1)
	v_mad_u64_u32 v[5:6], null, s7, v0, v[4:5]
	v_cndmask_b32_e32 v6, 0, v0, vcc_lo
	v_lshlrev_b32_e32 v7, 3, v6
	s_waitcnt lgkmcnt(0)
	s_add_u32 s2, s24, s8
	s_addc_u32 s24, s25, s9
	s_add_u32 s0, s26, s20
	s_addc_u32 s1, s27, s21
	s_lshl_b64 s[8:9], s[16:17], 3
	s_load_b64 s[0:1], s[0:1], 0x0
	s_mul_i32 s19, s14, s19
	s_mul_hi_u32 s20, s14, s18
	s_mul_i32 s16, s14, s18
	v_mov_b32_e32 v4, v5
	s_delay_alu instid0(VALU_DEP_1)
	v_lshlrev_b64 v[5:6], 3, v[3:4]
	s_waitcnt lgkmcnt(0)
	s_add_u32 s8, s0, s8
	s_addc_u32 s9, s1, s9
	s_ashr_i32 s21, s14, 31
	s_add_i32 s0, s20, s19
	s_mul_i32 s1, s21, s18
	s_mul_hi_u32 s18, s14, s10
	s_add_i32 s17, s0, s1
	s_mul_i32 s21, s21, s10
	s_lshl_b64 s[0:1], s[16:17], 3
	s_delay_alu instid0(SALU_CYCLE_1) | instskip(SKIP_2) | instid1(SALU_CYCLE_1)
	s_add_u32 s8, s0, s8
	s_addc_u32 s9, s1, s9
	s_add_i32 s0, s18, s11
	s_add_i32 s1, s0, s21
	s_mul_i32 s0, s14, s10
	s_delay_alu instid0(SALU_CYCLE_1) | instskip(NEXT) | instid1(SALU_CYCLE_1)
	s_lshl_b64 s[0:1], s[0:1], 3
	s_add_u32 s0, s2, s0
	s_addc_u32 s1, s24, s1
	s_lshl_b64 s[4:5], s[4:5], 3
	s_load_b64 s[0:1], s[0:1], 0x0
	v_add_co_u32 v3, s2, s8, v7
	s_delay_alu instid0(VALU_DEP_1)
	v_add_co_ci_u32_e64 v4, null, s9, 0, s2
	s_waitcnt lgkmcnt(0)
	v_mul_f64 v[1:2], s[0:1], s[12:13]
	s_load_b64 s[0:1], s[22:23], 0x0
	s_waitcnt lgkmcnt(0)
	s_add_u32 s0, s0, s4
	s_addc_u32 s1, s1, s5
	v_add_co_u32 v5, vcc_lo, s0, v5
	v_add_co_ci_u32_e32 v6, vcc_lo, s1, v6, vcc_lo
	s_lshl_b64 s[4:5], s[6:7], 13
	.p2align	6
.LBB45_3:                               ; =>This Inner Loop Header: Depth=1
	global_load_b64 v[7:8], v[5:6], off
	global_load_b64 v[9:10], v[3:4], off
	v_add_nc_u32_e32 v0, 0x400, v0
	v_add_co_u32 v5, vcc_lo, v5, s4
	v_add_co_ci_u32_e32 v6, vcc_lo, s5, v6, vcc_lo
	s_delay_alu instid0(VALU_DEP_3)
	v_cmp_le_i32_e32 vcc_lo, s15, v0
	s_or_b32 s3, vcc_lo, s3
	s_waitcnt vmcnt(0)
	v_fma_f64 v[7:8], v[1:2], v[7:8], v[9:10]
	global_store_b64 v[3:4], v[7:8], off
	v_add_co_u32 v3, s0, 0x2000, v3
	s_delay_alu instid0(VALU_DEP_1)
	v_add_co_ci_u32_e64 v4, s0, 0, v4, s0
	s_and_not1_b32 exec_lo, exec_lo, s3
	s_cbranch_execnz .LBB45_3
.LBB45_4:
	s_nop 0
	s_sendmsg sendmsg(MSG_DEALLOC_VGPRS)
	s_endpgm
	.section	.rodata,"a",@progbits
	.p2align	6, 0x0
	.amdhsa_kernel _ZL19rocblas_sger_kernelILi1024EddPKPKdPKPdEviiT1_lT2_lllS8_lllT3_lmli
		.amdhsa_group_segment_fixed_size 0
		.amdhsa_private_segment_fixed_size 0
		.amdhsa_kernarg_size 124
		.amdhsa_user_sgpr_count 14
		.amdhsa_user_sgpr_dispatch_ptr 0
		.amdhsa_user_sgpr_queue_ptr 0
		.amdhsa_user_sgpr_kernarg_segment_ptr 1
		.amdhsa_user_sgpr_dispatch_id 0
		.amdhsa_user_sgpr_private_segment_size 0
		.amdhsa_wavefront_size32 1
		.amdhsa_uses_dynamic_stack 0
		.amdhsa_enable_private_segment 0
		.amdhsa_system_sgpr_workgroup_id_x 1
		.amdhsa_system_sgpr_workgroup_id_y 0
		.amdhsa_system_sgpr_workgroup_id_z 1
		.amdhsa_system_sgpr_workgroup_info 0
		.amdhsa_system_vgpr_workitem_id 0
		.amdhsa_next_free_vgpr 11
		.amdhsa_next_free_sgpr 28
		.amdhsa_reserve_vcc 1
		.amdhsa_float_round_mode_32 0
		.amdhsa_float_round_mode_16_64 0
		.amdhsa_float_denorm_mode_32 3
		.amdhsa_float_denorm_mode_16_64 3
		.amdhsa_dx10_clamp 1
		.amdhsa_ieee_mode 1
		.amdhsa_fp16_overflow 0
		.amdhsa_workgroup_processor_mode 1
		.amdhsa_memory_ordered 1
		.amdhsa_forward_progress 0
		.amdhsa_shared_vgpr_count 0
		.amdhsa_exception_fp_ieee_invalid_op 0
		.amdhsa_exception_fp_denorm_src 0
		.amdhsa_exception_fp_ieee_div_zero 0
		.amdhsa_exception_fp_ieee_overflow 0
		.amdhsa_exception_fp_ieee_underflow 0
		.amdhsa_exception_fp_ieee_inexact 0
		.amdhsa_exception_int_div_zero 0
	.end_amdhsa_kernel
	.section	.text._ZL19rocblas_sger_kernelILi1024EddPKPKdPKPdEviiT1_lT2_lllS8_lllT3_lmli,"axG",@progbits,_ZL19rocblas_sger_kernelILi1024EddPKPKdPKPdEviiT1_lT2_lllS8_lllT3_lmli,comdat
.Lfunc_end45:
	.size	_ZL19rocblas_sger_kernelILi1024EddPKPKdPKPdEviiT1_lT2_lllS8_lllT3_lmli, .Lfunc_end45-_ZL19rocblas_sger_kernelILi1024EddPKPKdPKPdEviiT1_lT2_lllS8_lllT3_lmli
                                        ; -- End function
	.section	.AMDGPU.csdata,"",@progbits
; Kernel info:
; codeLenInByte = 524
; NumSgprs: 30
; NumVgprs: 11
; ScratchSize: 0
; MemoryBound: 0
; FloatMode: 240
; IeeeMode: 1
; LDSByteSize: 0 bytes/workgroup (compile time only)
; SGPRBlocks: 3
; VGPRBlocks: 1
; NumSGPRsForWavesPerEU: 30
; NumVGPRsForWavesPerEU: 11
; Occupancy: 16
; WaveLimiterHint : 1
; COMPUTE_PGM_RSRC2:SCRATCH_EN: 0
; COMPUTE_PGM_RSRC2:USER_SGPR: 14
; COMPUTE_PGM_RSRC2:TRAP_HANDLER: 0
; COMPUTE_PGM_RSRC2:TGID_X_EN: 1
; COMPUTE_PGM_RSRC2:TGID_Y_EN: 0
; COMPUTE_PGM_RSRC2:TGID_Z_EN: 1
; COMPUTE_PGM_RSRC2:TIDIG_COMP_CNT: 0
	.section	.text._ZL18rocblas_ger_kernelILi32ELi32ELi2ELb0EdPKdPKS1_PKPdEviiT4_lT5_lllS8_lllT6_lmli,"axG",@progbits,_ZL18rocblas_ger_kernelILi32ELi32ELi2ELb0EdPKdPKS1_PKPdEviiT4_lT5_lllS8_lllT6_lmli,comdat
	.globl	_ZL18rocblas_ger_kernelILi32ELi32ELi2ELb0EdPKdPKS1_PKPdEviiT4_lT5_lllS8_lllT6_lmli ; -- Begin function _ZL18rocblas_ger_kernelILi32ELi32ELi2ELb0EdPKdPKS1_PKPdEviiT4_lT5_lllS8_lllT6_lmli
	.p2align	8
	.type	_ZL18rocblas_ger_kernelILi32ELi32ELi2ELb0EdPKdPKS1_PKPdEviiT4_lT5_lllS8_lllT6_lmli,@function
_ZL18rocblas_ger_kernelILi32ELi32ELi2ELb0EdPKdPKS1_PKPdEviiT4_lT5_lllS8_lllT6_lmli: ; @_ZL18rocblas_ger_kernelILi32ELi32ELi2ELb0EdPKdPKS1_PKPdEviiT4_lT5_lllS8_lllT6_lmli
; %bb.0:
	s_clause 0x1
	s_load_b64 s[4:5], s[0:1], 0x0
	s_load_b128 s[16:19], s[0:1], 0x8
	s_waitcnt lgkmcnt(0)
	s_add_i32 s2, s4, -1
	s_mul_i32 s7, s15, s19
	s_ashr_i32 s3, s2, 31
	s_mul_hi_u32 s8, s15, s18
	s_lshr_b32 s3, s3, 27
	s_delay_alu instid0(SALU_CYCLE_1)
	s_add_i32 s9, s2, s3
	s_add_i32 s3, s8, s7
	s_mul_i32 s2, s15, s18
	s_ashr_i32 s7, s9, 5
	s_lshl_b64 s[2:3], s[2:3], 3
	s_add_i32 s8, s7, 1
	s_add_u32 s2, s16, s2
	s_addc_u32 s3, s17, s3
	v_cvt_f32_u32_e32 v1, s8
	s_load_b64 s[2:3], s[2:3], 0x0
	s_delay_alu instid0(VALU_DEP_1) | instskip(SKIP_2) | instid1(VALU_DEP_1)
	v_rcp_iflag_f32_e32 v1, v1
	s_waitcnt_depctr 0xfff
	v_mul_f32_e32 v1, 0x4f7ffffe, v1
	v_cvt_u32_f32_e32 v1, v1
	s_waitcnt lgkmcnt(0)
	v_cmp_eq_f64_e64 s10, s[2:3], 0
	s_delay_alu instid0(VALU_DEP_2) | instskip(NEXT) | instid1(VALU_DEP_2)
	v_readfirstlane_b32 s9, v1
	s_and_b32 vcc_lo, exec_lo, s10
	s_cbranch_vccnz .LBB46_14
; %bb.1:
	s_not_b32 s7, s7
	s_clause 0x1
	s_load_b64 s[16:17], s[0:1], 0x38
	s_load_b64 s[18:19], s[0:1], 0x58
	s_mul_i32 s7, s7, s9
	s_mov_b32 s6, s15
	s_mul_hi_u32 s7, s9, s7
	v_and_b32_e32 v3, 0x3ff, v0
	s_add_i32 s9, s9, s7
	v_bfe_u32 v4, v0, 10, 10
	s_mul_hi_u32 s7, s14, s9
	s_delay_alu instid0(SALU_CYCLE_1) | instskip(SKIP_2) | instid1(SALU_CYCLE_1)
	s_mul_i32 s9, s7, s8
	s_add_i32 s10, s7, 1
	s_sub_i32 s9, s14, s9
	s_sub_i32 s11, s9, s8
	s_cmp_ge_u32 s9, s8
	s_cselect_b32 s7, s10, s7
	s_cselect_b32 s9, s11, s9
	s_add_i32 s10, s7, 1
	s_cmp_ge_u32 s9, s8
	s_cselect_b32 s12, s10, s7
	s_mov_b32 s7, 0
	s_mul_i32 s8, s12, s8
	s_lshl_b64 s[10:11], s[6:7], 3
	s_sub_i32 s13, s14, s8
	s_waitcnt lgkmcnt(0)
	s_add_u32 s6, s16, s10
	s_addc_u32 s7, s17, s11
	s_add_u32 s14, s18, s10
	s_addc_u32 s15, s19, s11
	s_load_b64 s[8:9], s[6:7], 0x0
	s_load_b64 s[6:7], s[14:15], 0x0
	v_lshl_add_u32 v0, s13, 5, v3
	s_mov_b32 s13, exec_lo
	v_cmpx_eq_u32_e32 0, v4
	s_cbranch_execz .LBB46_5
; %bb.2:
	v_mov_b32_e32 v1, 0
	v_mov_b32_e32 v2, 0
	s_mov_b32 s14, exec_lo
	v_cmpx_gt_i32_e64 s4, v0
	s_cbranch_execz .LBB46_4
; %bb.3:
	s_clause 0x1
	s_load_b64 s[20:21], s[0:1], 0x18
	s_load_b128 s[16:19], s[0:1], 0x20
	v_ashrrev_i32_e32 v1, 31, v0
	s_waitcnt lgkmcnt(0)
	s_add_u32 s10, s20, s10
	s_addc_u32 s11, s21, s11
	v_mul_lo_u32 v5, v0, s19
	s_load_b64 s[10:11], s[10:11], 0x0
	v_mul_lo_u32 v6, v1, s18
	v_mad_u64_u32 v[1:2], null, v0, s18, 0
	s_lshl_b64 s[16:17], s[16:17], 3
	s_delay_alu instid0(VALU_DEP_1) | instskip(NEXT) | instid1(VALU_DEP_1)
	v_add3_u32 v2, v2, v5, v6
	v_lshlrev_b64 v[1:2], 3, v[1:2]
	s_waitcnt lgkmcnt(0)
	s_add_u32 s10, s10, s16
	s_addc_u32 s11, s11, s17
	s_delay_alu instid0(VALU_DEP_1) | instskip(NEXT) | instid1(VALU_DEP_2)
	v_add_co_u32 v1, vcc_lo, s10, v1
	v_add_co_ci_u32_e32 v2, vcc_lo, s11, v2, vcc_lo
	global_load_b64 v[1:2], v[1:2], off
.LBB46_4:
	s_or_b32 exec_lo, exec_lo, s14
	v_lshlrev_b32_e32 v5, 3, v3
	s_waitcnt vmcnt(0)
	ds_store_b64 v5, v[1:2] offset:512
.LBB46_5:
	s_or_b32 exec_lo, exec_lo, s13
	v_lshlrev_b32_e32 v5, 1, v4
	s_mov_b32 s10, exec_lo
	s_delay_alu instid0(VALU_DEP_1)
	v_lshl_add_u32 v4, s12, 6, v5
	v_cmpx_gt_u32_e32 2, v3
	s_cbranch_execz .LBB46_9
; %bb.6:
	v_mov_b32_e32 v1, 0
	s_delay_alu instid0(VALU_DEP_3) | instskip(SKIP_2) | instid1(VALU_DEP_2)
	v_or_b32_e32 v6, v4, v3
	v_mov_b32_e32 v2, 0
	s_mov_b32 s11, exec_lo
	v_cmpx_gt_u32_e64 s5, v6
	s_cbranch_execz .LBB46_8
; %bb.7:
	s_load_b128 s[12:15], s[0:1], 0x40
	s_waitcnt lgkmcnt(0)
	v_mad_u64_u32 v[1:2], null, v6, s14, 0
	s_lshl_b64 s[12:13], s[12:13], 3
	s_delay_alu instid0(SALU_CYCLE_1) | instskip(SKIP_1) | instid1(VALU_DEP_1)
	s_add_u32 s8, s8, s12
	s_addc_u32 s9, s9, s13
	v_mad_u64_u32 v[7:8], null, v6, s15, v[2:3]
	s_delay_alu instid0(VALU_DEP_1) | instskip(NEXT) | instid1(VALU_DEP_1)
	v_mov_b32_e32 v2, v7
	v_lshlrev_b64 v[1:2], 3, v[1:2]
	s_delay_alu instid0(VALU_DEP_1) | instskip(NEXT) | instid1(VALU_DEP_2)
	v_add_co_u32 v1, vcc_lo, s8, v1
	v_add_co_ci_u32_e32 v2, vcc_lo, s9, v2, vcc_lo
	global_load_b64 v[1:2], v[1:2], off
.LBB46_8:
	s_or_b32 exec_lo, exec_lo, s11
	v_or_b32_e32 v6, v5, v3
	s_delay_alu instid0(VALU_DEP_1)
	v_lshlrev_b32_e32 v6, 3, v6
	s_waitcnt vmcnt(0)
	ds_store_b64 v6, v[1:2]
.LBB46_9:
	s_or_b32 exec_lo, exec_lo, s10
	v_cmp_gt_i32_e32 vcc_lo, s4, v0
	s_waitcnt lgkmcnt(0)
	s_barrier
	buffer_gl0_inv
	s_and_saveexec_b32 s4, vcc_lo
	s_cbranch_execz .LBB46_14
; %bb.10:
	v_lshlrev_b32_e32 v1, 3, v3
	ds_load_b64 v[1:2], v1 offset:512
	s_waitcnt lgkmcnt(0)
	v_mul_f64 v[2:3], s[2:3], v[1:2]
	s_load_b128 s[0:3], s[0:1], 0x60
	v_ashrrev_i32_e32 v1, 31, v0
	s_delay_alu instid0(VALU_DEP_1) | instskip(SKIP_3) | instid1(SALU_CYCLE_1)
	v_lshlrev_b64 v[6:7], 3, v[0:1]
	v_lshlrev_b32_e32 v0, 3, v5
	s_waitcnt lgkmcnt(0)
	s_lshl_b64 s[0:1], s[0:1], 3
	s_add_u32 s0, s6, s0
	s_addc_u32 s1, s7, s1
	v_add_co_u32 v1, vcc_lo, s0, v6
	v_add_co_ci_u32_e32 v6, vcc_lo, s1, v7, vcc_lo
	s_mov_b32 s0, exec_lo
	v_cmpx_gt_i32_e64 s5, v4
	s_cbranch_execz .LBB46_12
; %bb.11:
	v_ashrrev_i32_e32 v5, 31, v4
	v_mul_lo_u32 v9, v4, s3
	v_mad_u64_u32 v[7:8], null, v4, s2, 0
	ds_load_b64 v[11:12], v0
	v_mul_lo_u32 v5, v5, s2
	s_delay_alu instid0(VALU_DEP_1) | instskip(NEXT) | instid1(VALU_DEP_1)
	v_add3_u32 v8, v8, v9, v5
	v_lshlrev_b64 v[7:8], 3, v[7:8]
	s_delay_alu instid0(VALU_DEP_1) | instskip(NEXT) | instid1(VALU_DEP_2)
	v_add_co_u32 v7, vcc_lo, v1, v7
	v_add_co_ci_u32_e32 v8, vcc_lo, v6, v8, vcc_lo
	global_load_b64 v[9:10], v[7:8], off
	s_waitcnt vmcnt(0) lgkmcnt(0)
	v_fma_f64 v[9:10], v[2:3], v[11:12], v[9:10]
	global_store_b64 v[7:8], v[9:10], off
.LBB46_12:
	s_or_b32 exec_lo, exec_lo, s0
	v_or_b32_e32 v4, 1, v4
	s_delay_alu instid0(VALU_DEP_1)
	v_cmp_gt_i32_e32 vcc_lo, s5, v4
	s_and_b32 exec_lo, exec_lo, vcc_lo
	s_cbranch_execz .LBB46_14
; %bb.13:
	v_ashrrev_i32_e32 v5, 31, v4
	v_mul_lo_u32 v9, v4, s3
	v_mad_u64_u32 v[7:8], null, v4, s2, 0
	s_delay_alu instid0(VALU_DEP_3) | instskip(NEXT) | instid1(VALU_DEP_1)
	v_mul_lo_u32 v4, v5, s2
	v_add3_u32 v8, v8, v9, v4
	s_delay_alu instid0(VALU_DEP_1) | instskip(NEXT) | instid1(VALU_DEP_1)
	v_lshlrev_b64 v[4:5], 3, v[7:8]
	v_add_co_u32 v4, vcc_lo, v1, v4
	s_delay_alu instid0(VALU_DEP_2)
	v_add_co_ci_u32_e32 v5, vcc_lo, v6, v5, vcc_lo
	ds_load_b64 v[0:1], v0 offset:8
	global_load_b64 v[6:7], v[4:5], off
	s_waitcnt vmcnt(0) lgkmcnt(0)
	v_fma_f64 v[0:1], v[2:3], v[0:1], v[6:7]
	global_store_b64 v[4:5], v[0:1], off
.LBB46_14:
	s_nop 0
	s_sendmsg sendmsg(MSG_DEALLOC_VGPRS)
	s_endpgm
	.section	.rodata,"a",@progbits
	.p2align	6, 0x0
	.amdhsa_kernel _ZL18rocblas_ger_kernelILi32ELi32ELi2ELb0EdPKdPKS1_PKPdEviiT4_lT5_lllS8_lllT6_lmli
		.amdhsa_group_segment_fixed_size 768
		.amdhsa_private_segment_fixed_size 0
		.amdhsa_kernarg_size 124
		.amdhsa_user_sgpr_count 14
		.amdhsa_user_sgpr_dispatch_ptr 0
		.amdhsa_user_sgpr_queue_ptr 0
		.amdhsa_user_sgpr_kernarg_segment_ptr 1
		.amdhsa_user_sgpr_dispatch_id 0
		.amdhsa_user_sgpr_private_segment_size 0
		.amdhsa_wavefront_size32 1
		.amdhsa_uses_dynamic_stack 0
		.amdhsa_enable_private_segment 0
		.amdhsa_system_sgpr_workgroup_id_x 1
		.amdhsa_system_sgpr_workgroup_id_y 0
		.amdhsa_system_sgpr_workgroup_id_z 1
		.amdhsa_system_sgpr_workgroup_info 0
		.amdhsa_system_vgpr_workitem_id 1
		.amdhsa_next_free_vgpr 13
		.amdhsa_next_free_sgpr 22
		.amdhsa_reserve_vcc 1
		.amdhsa_float_round_mode_32 0
		.amdhsa_float_round_mode_16_64 0
		.amdhsa_float_denorm_mode_32 3
		.amdhsa_float_denorm_mode_16_64 3
		.amdhsa_dx10_clamp 1
		.amdhsa_ieee_mode 1
		.amdhsa_fp16_overflow 0
		.amdhsa_workgroup_processor_mode 1
		.amdhsa_memory_ordered 1
		.amdhsa_forward_progress 0
		.amdhsa_shared_vgpr_count 0
		.amdhsa_exception_fp_ieee_invalid_op 0
		.amdhsa_exception_fp_denorm_src 0
		.amdhsa_exception_fp_ieee_div_zero 0
		.amdhsa_exception_fp_ieee_overflow 0
		.amdhsa_exception_fp_ieee_underflow 0
		.amdhsa_exception_fp_ieee_inexact 0
		.amdhsa_exception_int_div_zero 0
	.end_amdhsa_kernel
	.section	.text._ZL18rocblas_ger_kernelILi32ELi32ELi2ELb0EdPKdPKS1_PKPdEviiT4_lT5_lllS8_lllT6_lmli,"axG",@progbits,_ZL18rocblas_ger_kernelILi32ELi32ELi2ELb0EdPKdPKS1_PKPdEviiT4_lT5_lllS8_lllT6_lmli,comdat
.Lfunc_end46:
	.size	_ZL18rocblas_ger_kernelILi32ELi32ELi2ELb0EdPKdPKS1_PKPdEviiT4_lT5_lllS8_lllT6_lmli, .Lfunc_end46-_ZL18rocblas_ger_kernelILi32ELi32ELi2ELb0EdPKdPKS1_PKPdEviiT4_lT5_lllS8_lllT6_lmli
                                        ; -- End function
	.section	.AMDGPU.csdata,"",@progbits
; Kernel info:
; codeLenInByte = 1036
; NumSgprs: 24
; NumVgprs: 13
; ScratchSize: 0
; MemoryBound: 0
; FloatMode: 240
; IeeeMode: 1
; LDSByteSize: 768 bytes/workgroup (compile time only)
; SGPRBlocks: 2
; VGPRBlocks: 1
; NumSGPRsForWavesPerEU: 24
; NumVGPRsForWavesPerEU: 13
; Occupancy: 16
; WaveLimiterHint : 1
; COMPUTE_PGM_RSRC2:SCRATCH_EN: 0
; COMPUTE_PGM_RSRC2:USER_SGPR: 14
; COMPUTE_PGM_RSRC2:TRAP_HANDLER: 0
; COMPUTE_PGM_RSRC2:TGID_X_EN: 1
; COMPUTE_PGM_RSRC2:TGID_Y_EN: 0
; COMPUTE_PGM_RSRC2:TGID_Z_EN: 1
; COMPUTE_PGM_RSRC2:TIDIG_COMP_CNT: 1
	.section	.text._ZL18rocblas_ger_kernelILi32ELi32ELi2ELb0EddPKPKdPKPdEviiT4_lT5_lllS8_lllT6_lmli,"axG",@progbits,_ZL18rocblas_ger_kernelILi32ELi32ELi2ELb0EddPKPKdPKPdEviiT4_lT5_lllS8_lllT6_lmli,comdat
	.globl	_ZL18rocblas_ger_kernelILi32ELi32ELi2ELb0EddPKPKdPKPdEviiT4_lT5_lllS8_lllT6_lmli ; -- Begin function _ZL18rocblas_ger_kernelILi32ELi32ELi2ELb0EddPKPKdPKPdEviiT4_lT5_lllS8_lllT6_lmli
	.p2align	8
	.type	_ZL18rocblas_ger_kernelILi32ELi32ELi2ELb0EddPKPKdPKPdEviiT4_lT5_lllS8_lllT6_lmli,@function
_ZL18rocblas_ger_kernelILi32ELi32ELi2ELb0EddPKPKdPKPdEviiT4_lT5_lllS8_lllT6_lmli: ; @_ZL18rocblas_ger_kernelILi32ELi32ELi2ELb0EddPKPKdPKPdEviiT4_lT5_lllS8_lllT6_lmli
; %bb.0:
	s_load_b128 s[4:7], s[0:1], 0x0
	s_waitcnt lgkmcnt(0)
	s_add_i32 s3, s4, -1
	v_cmp_eq_f64_e64 s10, s[6:7], 0
	s_ashr_i32 s8, s3, 31
	s_delay_alu instid0(SALU_CYCLE_1) | instskip(NEXT) | instid1(SALU_CYCLE_1)
	s_lshr_b32 s8, s8, 27
	s_add_i32 s3, s3, s8
	s_delay_alu instid0(SALU_CYCLE_1) | instskip(NEXT) | instid1(SALU_CYCLE_1)
	s_ashr_i32 s3, s3, 5
	s_add_i32 s8, s3, 1
	s_delay_alu instid0(SALU_CYCLE_1) | instskip(NEXT) | instid1(VALU_DEP_1)
	v_cvt_f32_u32_e32 v1, s8
	v_rcp_iflag_f32_e32 v1, v1
	s_waitcnt_depctr 0xfff
	v_mul_f32_e32 v1, 0x4f7ffffe, v1
	s_delay_alu instid0(VALU_DEP_1) | instskip(NEXT) | instid1(VALU_DEP_1)
	v_cvt_u32_f32_e32 v1, v1
	v_readfirstlane_b32 s9, v1
	s_and_b32 vcc_lo, exec_lo, s10
	s_cbranch_vccnz .LBB47_14
; %bb.1:
	s_not_b32 s3, s3
	s_clause 0x1
	s_load_b64 s[16:17], s[0:1], 0x38
	s_load_b64 s[18:19], s[0:1], 0x58
	s_mul_i32 s3, s3, s9
	s_mov_b32 s2, s15
	s_mul_hi_u32 s3, s9, s3
	v_and_b32_e32 v3, 0x3ff, v0
	s_add_i32 s9, s9, s3
	v_bfe_u32 v4, v0, 10, 10
	s_mul_hi_u32 s3, s14, s9
	s_delay_alu instid0(SALU_CYCLE_1) | instskip(SKIP_2) | instid1(SALU_CYCLE_1)
	s_mul_i32 s9, s3, s8
	s_add_i32 s10, s3, 1
	s_sub_i32 s9, s14, s9
	s_sub_i32 s11, s9, s8
	s_cmp_ge_u32 s9, s8
	s_cselect_b32 s3, s10, s3
	s_cselect_b32 s9, s11, s9
	s_add_i32 s10, s3, 1
	s_cmp_ge_u32 s9, s8
	s_cselect_b32 s12, s10, s3
	s_mov_b32 s3, 0
	s_mul_i32 s8, s12, s8
	s_lshl_b64 s[10:11], s[2:3], 3
	s_sub_i32 s13, s14, s8
	s_waitcnt lgkmcnt(0)
	s_add_u32 s2, s16, s10
	s_addc_u32 s3, s17, s11
	s_add_u32 s8, s18, s10
	s_addc_u32 s9, s19, s11
	s_load_b64 s[2:3], s[2:3], 0x0
	s_load_b64 s[8:9], s[8:9], 0x0
	v_lshl_add_u32 v0, s13, 5, v3
	s_mov_b32 s13, exec_lo
	v_cmpx_eq_u32_e32 0, v4
	s_cbranch_execz .LBB47_5
; %bb.2:
	v_mov_b32_e32 v1, 0
	v_mov_b32_e32 v2, 0
	s_mov_b32 s14, exec_lo
	v_cmpx_gt_i32_e64 s4, v0
	s_cbranch_execz .LBB47_4
; %bb.3:
	s_clause 0x1
	s_load_b64 s[20:21], s[0:1], 0x18
	s_load_b128 s[16:19], s[0:1], 0x20
	v_ashrrev_i32_e32 v1, 31, v0
	s_waitcnt lgkmcnt(0)
	s_add_u32 s10, s20, s10
	s_addc_u32 s11, s21, s11
	v_mul_lo_u32 v5, v0, s19
	s_load_b64 s[10:11], s[10:11], 0x0
	v_mul_lo_u32 v6, v1, s18
	v_mad_u64_u32 v[1:2], null, v0, s18, 0
	s_lshl_b64 s[16:17], s[16:17], 3
	s_delay_alu instid0(VALU_DEP_1) | instskip(NEXT) | instid1(VALU_DEP_1)
	v_add3_u32 v2, v2, v5, v6
	v_lshlrev_b64 v[1:2], 3, v[1:2]
	s_waitcnt lgkmcnt(0)
	s_add_u32 s10, s10, s16
	s_addc_u32 s11, s11, s17
	s_delay_alu instid0(VALU_DEP_1) | instskip(NEXT) | instid1(VALU_DEP_2)
	v_add_co_u32 v1, vcc_lo, s10, v1
	v_add_co_ci_u32_e32 v2, vcc_lo, s11, v2, vcc_lo
	global_load_b64 v[1:2], v[1:2], off
.LBB47_4:
	s_or_b32 exec_lo, exec_lo, s14
	v_lshlrev_b32_e32 v5, 3, v3
	s_waitcnt vmcnt(0)
	ds_store_b64 v5, v[1:2] offset:512
.LBB47_5:
	s_or_b32 exec_lo, exec_lo, s13
	v_lshlrev_b32_e32 v5, 1, v4
	s_mov_b32 s10, exec_lo
	s_delay_alu instid0(VALU_DEP_1)
	v_lshl_add_u32 v4, s12, 6, v5
	v_cmpx_gt_u32_e32 2, v3
	s_cbranch_execz .LBB47_9
; %bb.6:
	v_mov_b32_e32 v1, 0
	s_delay_alu instid0(VALU_DEP_3) | instskip(SKIP_2) | instid1(VALU_DEP_2)
	v_or_b32_e32 v6, v4, v3
	v_mov_b32_e32 v2, 0
	s_mov_b32 s11, exec_lo
	v_cmpx_gt_u32_e64 s5, v6
	s_cbranch_execz .LBB47_8
; %bb.7:
	s_load_b128 s[12:15], s[0:1], 0x40
	s_waitcnt lgkmcnt(0)
	v_mad_u64_u32 v[1:2], null, v6, s14, 0
	s_lshl_b64 s[12:13], s[12:13], 3
	s_delay_alu instid0(SALU_CYCLE_1) | instskip(SKIP_1) | instid1(VALU_DEP_1)
	s_add_u32 s2, s2, s12
	s_addc_u32 s3, s3, s13
	v_mad_u64_u32 v[7:8], null, v6, s15, v[2:3]
	s_delay_alu instid0(VALU_DEP_1) | instskip(NEXT) | instid1(VALU_DEP_1)
	v_mov_b32_e32 v2, v7
	v_lshlrev_b64 v[1:2], 3, v[1:2]
	s_delay_alu instid0(VALU_DEP_1) | instskip(NEXT) | instid1(VALU_DEP_2)
	v_add_co_u32 v1, vcc_lo, s2, v1
	v_add_co_ci_u32_e32 v2, vcc_lo, s3, v2, vcc_lo
	global_load_b64 v[1:2], v[1:2], off
.LBB47_8:
	s_or_b32 exec_lo, exec_lo, s11
	v_or_b32_e32 v6, v5, v3
	s_delay_alu instid0(VALU_DEP_1)
	v_lshlrev_b32_e32 v6, 3, v6
	s_waitcnt vmcnt(0)
	ds_store_b64 v6, v[1:2]
.LBB47_9:
	s_or_b32 exec_lo, exec_lo, s10
	s_waitcnt lgkmcnt(0)
	s_barrier
	buffer_gl0_inv
	s_mov_b32 s2, exec_lo
	v_cmpx_gt_i32_e64 s4, v0
	s_cbranch_execz .LBB47_14
; %bb.10:
	v_lshlrev_b32_e32 v1, 3, v3
	s_load_b128 s[0:3], s[0:1], 0x60
	ds_load_b64 v[1:2], v1 offset:512
	s_waitcnt lgkmcnt(0)
	s_lshl_b64 s[0:1], s[0:1], 3
	s_delay_alu instid0(SALU_CYCLE_1) | instskip(SKIP_3) | instid1(VALU_DEP_1)
	s_add_u32 s0, s8, s0
	s_addc_u32 s1, s9, s1
	v_mul_f64 v[2:3], v[1:2], s[6:7]
	v_ashrrev_i32_e32 v1, 31, v0
	v_lshlrev_b64 v[6:7], 3, v[0:1]
	v_lshlrev_b32_e32 v0, 3, v5
	s_delay_alu instid0(VALU_DEP_2) | instskip(NEXT) | instid1(VALU_DEP_3)
	v_add_co_u32 v1, vcc_lo, s0, v6
	v_add_co_ci_u32_e32 v6, vcc_lo, s1, v7, vcc_lo
	s_mov_b32 s0, exec_lo
	v_cmpx_gt_i32_e64 s5, v4
	s_cbranch_execz .LBB47_12
; %bb.11:
	v_ashrrev_i32_e32 v5, 31, v4
	v_mul_lo_u32 v9, v4, s3
	v_mad_u64_u32 v[7:8], null, v4, s2, 0
	ds_load_b64 v[11:12], v0
	v_mul_lo_u32 v5, v5, s2
	s_delay_alu instid0(VALU_DEP_1) | instskip(NEXT) | instid1(VALU_DEP_1)
	v_add3_u32 v8, v8, v9, v5
	v_lshlrev_b64 v[7:8], 3, v[7:8]
	s_delay_alu instid0(VALU_DEP_1) | instskip(NEXT) | instid1(VALU_DEP_2)
	v_add_co_u32 v7, vcc_lo, v1, v7
	v_add_co_ci_u32_e32 v8, vcc_lo, v6, v8, vcc_lo
	global_load_b64 v[9:10], v[7:8], off
	s_waitcnt vmcnt(0) lgkmcnt(0)
	v_fma_f64 v[9:10], v[2:3], v[11:12], v[9:10]
	global_store_b64 v[7:8], v[9:10], off
.LBB47_12:
	s_or_b32 exec_lo, exec_lo, s0
	v_or_b32_e32 v4, 1, v4
	s_delay_alu instid0(VALU_DEP_1)
	v_cmp_gt_i32_e32 vcc_lo, s5, v4
	s_and_b32 exec_lo, exec_lo, vcc_lo
	s_cbranch_execz .LBB47_14
; %bb.13:
	v_ashrrev_i32_e32 v5, 31, v4
	v_mul_lo_u32 v9, v4, s3
	v_mad_u64_u32 v[7:8], null, v4, s2, 0
	s_delay_alu instid0(VALU_DEP_3) | instskip(NEXT) | instid1(VALU_DEP_1)
	v_mul_lo_u32 v4, v5, s2
	v_add3_u32 v8, v8, v9, v4
	s_delay_alu instid0(VALU_DEP_1) | instskip(NEXT) | instid1(VALU_DEP_1)
	v_lshlrev_b64 v[4:5], 3, v[7:8]
	v_add_co_u32 v4, vcc_lo, v1, v4
	s_delay_alu instid0(VALU_DEP_2)
	v_add_co_ci_u32_e32 v5, vcc_lo, v6, v5, vcc_lo
	ds_load_b64 v[0:1], v0 offset:8
	global_load_b64 v[6:7], v[4:5], off
	s_waitcnt vmcnt(0) lgkmcnt(0)
	v_fma_f64 v[0:1], v[2:3], v[0:1], v[6:7]
	global_store_b64 v[4:5], v[0:1], off
.LBB47_14:
	s_nop 0
	s_sendmsg sendmsg(MSG_DEALLOC_VGPRS)
	s_endpgm
	.section	.rodata,"a",@progbits
	.p2align	6, 0x0
	.amdhsa_kernel _ZL18rocblas_ger_kernelILi32ELi32ELi2ELb0EddPKPKdPKPdEviiT4_lT5_lllS8_lllT6_lmli
		.amdhsa_group_segment_fixed_size 768
		.amdhsa_private_segment_fixed_size 0
		.amdhsa_kernarg_size 124
		.amdhsa_user_sgpr_count 14
		.amdhsa_user_sgpr_dispatch_ptr 0
		.amdhsa_user_sgpr_queue_ptr 0
		.amdhsa_user_sgpr_kernarg_segment_ptr 1
		.amdhsa_user_sgpr_dispatch_id 0
		.amdhsa_user_sgpr_private_segment_size 0
		.amdhsa_wavefront_size32 1
		.amdhsa_uses_dynamic_stack 0
		.amdhsa_enable_private_segment 0
		.amdhsa_system_sgpr_workgroup_id_x 1
		.amdhsa_system_sgpr_workgroup_id_y 0
		.amdhsa_system_sgpr_workgroup_id_z 1
		.amdhsa_system_sgpr_workgroup_info 0
		.amdhsa_system_vgpr_workitem_id 1
		.amdhsa_next_free_vgpr 13
		.amdhsa_next_free_sgpr 22
		.amdhsa_reserve_vcc 1
		.amdhsa_float_round_mode_32 0
		.amdhsa_float_round_mode_16_64 0
		.amdhsa_float_denorm_mode_32 3
		.amdhsa_float_denorm_mode_16_64 3
		.amdhsa_dx10_clamp 1
		.amdhsa_ieee_mode 1
		.amdhsa_fp16_overflow 0
		.amdhsa_workgroup_processor_mode 1
		.amdhsa_memory_ordered 1
		.amdhsa_forward_progress 0
		.amdhsa_shared_vgpr_count 0
		.amdhsa_exception_fp_ieee_invalid_op 0
		.amdhsa_exception_fp_denorm_src 0
		.amdhsa_exception_fp_ieee_div_zero 0
		.amdhsa_exception_fp_ieee_overflow 0
		.amdhsa_exception_fp_ieee_underflow 0
		.amdhsa_exception_fp_ieee_inexact 0
		.amdhsa_exception_int_div_zero 0
	.end_amdhsa_kernel
	.section	.text._ZL18rocblas_ger_kernelILi32ELi32ELi2ELb0EddPKPKdPKPdEviiT4_lT5_lllS8_lllT6_lmli,"axG",@progbits,_ZL18rocblas_ger_kernelILi32ELi32ELi2ELb0EddPKPKdPKPdEviiT4_lT5_lllS8_lllT6_lmli,comdat
.Lfunc_end47:
	.size	_ZL18rocblas_ger_kernelILi32ELi32ELi2ELb0EddPKPKdPKPdEviiT4_lT5_lllS8_lllT6_lmli, .Lfunc_end47-_ZL18rocblas_ger_kernelILi32ELi32ELi2ELb0EddPKPKdPKPdEviiT4_lT5_lllS8_lllT6_lmli
                                        ; -- End function
	.section	.AMDGPU.csdata,"",@progbits
; Kernel info:
; codeLenInByte = 992
; NumSgprs: 24
; NumVgprs: 13
; ScratchSize: 0
; MemoryBound: 0
; FloatMode: 240
; IeeeMode: 1
; LDSByteSize: 768 bytes/workgroup (compile time only)
; SGPRBlocks: 2
; VGPRBlocks: 1
; NumSGPRsForWavesPerEU: 24
; NumVGPRsForWavesPerEU: 13
; Occupancy: 16
; WaveLimiterHint : 1
; COMPUTE_PGM_RSRC2:SCRATCH_EN: 0
; COMPUTE_PGM_RSRC2:USER_SGPR: 14
; COMPUTE_PGM_RSRC2:TRAP_HANDLER: 0
; COMPUTE_PGM_RSRC2:TGID_X_EN: 1
; COMPUTE_PGM_RSRC2:TGID_Y_EN: 0
; COMPUTE_PGM_RSRC2:TGID_Z_EN: 1
; COMPUTE_PGM_RSRC2:TIDIG_COMP_CNT: 1
	.section	.text._ZL34rocblas_ger_double_buffered_kernelILb0ELi64ELi16ELi2E19rocblas_complex_numIfE24rocblas_internal_val_ptrIS1_EPKPKS1_PKPS1_EvbiiT4_lT5_lllSC_lllT6_lmli,"axG",@progbits,_ZL34rocblas_ger_double_buffered_kernelILb0ELi64ELi16ELi2E19rocblas_complex_numIfE24rocblas_internal_val_ptrIS1_EPKPKS1_PKPS1_EvbiiT4_lT5_lllSC_lllT6_lmli,comdat
	.globl	_ZL34rocblas_ger_double_buffered_kernelILb0ELi64ELi16ELi2E19rocblas_complex_numIfE24rocblas_internal_val_ptrIS1_EPKPKS1_PKPS1_EvbiiT4_lT5_lllSC_lllT6_lmli ; -- Begin function _ZL34rocblas_ger_double_buffered_kernelILb0ELi64ELi16ELi2E19rocblas_complex_numIfE24rocblas_internal_val_ptrIS1_EPKPKS1_PKPS1_EvbiiT4_lT5_lllSC_lllT6_lmli
	.p2align	8
	.type	_ZL34rocblas_ger_double_buffered_kernelILb0ELi64ELi16ELi2E19rocblas_complex_numIfE24rocblas_internal_val_ptrIS1_EPKPKS1_PKPS1_EvbiiT4_lT5_lllSC_lllT6_lmli,@function
_ZL34rocblas_ger_double_buffered_kernelILb0ELi64ELi16ELi2E19rocblas_complex_numIfE24rocblas_internal_val_ptrIS1_EPKPKS1_PKPS1_EvbiiT4_lT5_lllSC_lllT6_lmli: ; @_ZL34rocblas_ger_double_buffered_kernelILb0ELi64ELi16ELi2E19rocblas_complex_numIfE24rocblas_internal_val_ptrIS1_EPKPKS1_PKPS1_EvbiiT4_lT5_lllSC_lllT6_lmli
; %bb.0:
	s_clause 0x1
	s_load_b32 s2, s[0:1], 0x0
	s_load_b128 s[4:7], s[0:1], 0x10
	s_mov_b32 s8, s15
	s_mov_b32 s9, 0
	s_waitcnt lgkmcnt(0)
	s_bitcmp0_b32 s2, 0
	s_cbranch_scc0 .LBB48_2
; %bb.1:
	s_mul_i32 s2, s8, s7
	s_mul_hi_u32 s3, s8, s6
	s_delay_alu instid0(SALU_CYCLE_1) | instskip(SKIP_1) | instid1(SALU_CYCLE_1)
	s_add_i32 s3, s3, s2
	s_mul_i32 s2, s8, s6
	s_lshl_b64 s[2:3], s[2:3], 3
	s_delay_alu instid0(SALU_CYCLE_1)
	s_add_u32 s2, s4, s2
	s_addc_u32 s3, s5, s3
	s_load_b64 s[2:3], s[2:3], 0x0
	s_and_not1_b32 vcc_lo, exec_lo, s9
	s_cbranch_vccz .LBB48_3
	s_branch .LBB48_4
.LBB48_2:
	s_mov_b32 s9, -1
                                        ; implicit-def: $sgpr2
.LBB48_3:
	s_mov_b32 s9, 0
	s_waitcnt lgkmcnt(0)
	s_mov_b32 s3, s5
	s_mov_b32 s2, s4
.LBB48_4:
	s_waitcnt lgkmcnt(0)
	v_cmp_neq_f32_e64 s4, s2, 0
	v_cmp_neq_f32_e64 s5, s3, 0
	s_delay_alu instid0(VALU_DEP_1) | instskip(NEXT) | instid1(SALU_CYCLE_1)
	s_or_b32 s4, s4, s5
	s_and_not1_b32 vcc_lo, exec_lo, s4
	s_cbranch_vccnz .LBB48_6
; %bb.5:
	s_clause 0x1
	s_load_b64 s[10:11], s[0:1], 0x60
	s_load_b128 s[4:7], s[0:1], 0x68
	s_lshl_b64 s[20:21], s[8:9], 3
	v_and_b32_e32 v1, 0x3ff, v0
	v_bfe_u32 v0, v0, 10, 10
	s_delay_alu instid0(VALU_DEP_2) | instskip(NEXT) | instid1(VALU_DEP_2)
	v_and_b32_e32 v16, 31, v1
	v_lshl_add_u32 v0, v0, 6, v1
	s_delay_alu instid0(VALU_DEP_2) | instskip(NEXT) | instid1(VALU_DEP_2)
	v_or_b32_e32 v14, 32, v16
	v_lshrrev_b32_e32 v0, 4, v0
	s_delay_alu instid0(VALU_DEP_1)
	v_and_b32_e32 v15, 0x1ffe, v0
	s_waitcnt lgkmcnt(0)
	s_add_u32 s8, s10, s20
	s_addc_u32 s9, s11, s21
	s_lshl_b64 s[4:5], s[4:5], 3
	s_load_b64 s[22:23], s[8:9], 0x0
	s_clause 0x3
	s_load_b64 s[24:25], s[0:1], 0x40
	s_load_b128 s[16:19], s[0:1], 0x28
	s_load_b128 s[8:11], s[0:1], 0x48
	s_load_b64 s[0:1], s[0:1], 0x20
	v_or_b32_e32 v17, 1, v0
	v_mad_u64_u32 v[0:1], null, v15, s6, 0
	s_waitcnt lgkmcnt(0)
	s_add_u32 s12, s22, s4
	s_addc_u32 s15, s23, s5
	s_add_u32 s4, s24, s20
	s_addc_u32 s5, s25, s21
	s_lshl_b64 s[8:9], s[8:9], 3
	s_load_b64 s[4:5], s[4:5], 0x0
	v_mad_u64_u32 v[2:3], null, v16, s18, 0
	v_mad_u64_u32 v[4:5], null, v14, s18, 0
	;; [unrolled: 1-line block ×4, first 2 shown]
	s_delay_alu instid0(VALU_DEP_4) | instskip(NEXT) | instid1(VALU_DEP_4)
	v_mad_u64_u32 v[10:11], null, v15, s7, v[1:2]
	v_mad_u64_u32 v[11:12], null, v16, s19, v[3:4]
	s_delay_alu instid0(VALU_DEP_4) | instskip(NEXT) | instid1(VALU_DEP_4)
	v_mad_u64_u32 v[12:13], null, v14, s19, v[5:6]
	v_mad_u64_u32 v[13:14], null, v15, s11, v[7:8]
	s_delay_alu instid0(VALU_DEP_4) | instskip(NEXT) | instid1(VALU_DEP_4)
	v_mad_u64_u32 v[14:15], null, v17, s11, v[9:10]
	v_mov_b32_e32 v3, v11
	s_waitcnt lgkmcnt(0)
	s_add_u32 s8, s4, s8
	s_addc_u32 s9, s5, s9
	s_add_u32 s0, s0, s20
	s_addc_u32 s1, s1, s21
	s_lshl_b64 s[4:5], s[16:17], 3
	s_load_b64 s[0:1], s[0:1], 0x0
	v_mov_b32_e32 v5, v12
	v_lshlrev_b64 v[2:3], 3, v[2:3]
	v_dual_mov_b32 v1, v10 :: v_dual_lshlrev_b32 v10, 3, v16
	s_delay_alu instid0(VALU_DEP_3) | instskip(NEXT) | instid1(VALU_DEP_2)
	v_lshlrev_b64 v[4:5], 3, v[4:5]
	v_lshlrev_b64 v[0:1], 3, v[0:1]
	s_waitcnt lgkmcnt(0)
	s_add_u32 s16, s0, s4
	s_addc_u32 s17, s1, s5
	s_lshl_b32 s0, s13, 6
	s_delay_alu instid0(SALU_CYCLE_1)
	s_ashr_i32 s1, s0, 31
	s_mul_i32 s13, s0, s19
	s_lshl_b64 s[4:5], s[0:1], 3
	s_mul_hi_u32 s19, s0, s18
	s_add_u32 s12, s12, s4
	s_addc_u32 s15, s15, s5
	s_lshl_b32 s14, s14, 6
	s_mul_i32 s1, s1, s18
	s_mul_i32 s4, s14, s7
	s_mul_hi_u32 s5, s14, s6
	s_ashr_i32 s20, s14, 31
	s_add_i32 s5, s5, s4
	s_mul_i32 s21, s20, s6
	s_mul_i32 s4, s14, s6
	s_add_i32 s5, s5, s21
	s_mul_i32 s0, s0, s18
	s_lshl_b64 s[4:5], s[4:5], 3
	s_mul_i32 s20, s20, s10
	s_add_u32 s12, s12, s4
	s_addc_u32 s15, s15, s5
	s_add_i32 s4, s19, s13
	s_mul_i32 s5, s14, s11
	s_add_i32 s1, s4, s1
	s_mul_hi_u32 s4, s14, s10
	s_lshl_b64 s[0:1], s[0:1], 3
	s_delay_alu instid0(SALU_CYCLE_1)
	s_add_u32 s11, s16, s0
	s_addc_u32 s13, s17, s1
	v_add_co_u32 v2, vcc_lo, s11, v2
	v_add_co_ci_u32_e32 v3, vcc_lo, s13, v3, vcc_lo
	v_add_co_u32 v4, vcc_lo, s11, v4
	v_add_co_ci_u32_e32 v5, vcc_lo, s13, v5, vcc_lo
	s_clause 0x1
	global_load_b64 v[2:3], v[2:3], off
	global_load_b64 v[4:5], v[4:5], off
	s_add_i32 s1, s4, s5
	s_mul_i32 s0, s14, s10
	s_add_i32 s1, s1, s20
	s_lshl_b64 s[4:5], s[6:7], 3
	s_lshl_b64 s[0:1], s[0:1], 3
	s_delay_alu instid0(SALU_CYCLE_1) | instskip(SKIP_3) | instid1(VALU_DEP_1)
	s_add_u32 s0, s8, s0
	s_addc_u32 s1, s9, s1
	s_waitcnt vmcnt(1)
	v_mul_f32_e32 v20, s2, v3
	v_dual_fmac_f32 v20, s3, v2 :: v_dual_mov_b32 v7, v13
	v_mov_b32_e32 v9, v14
	s_delay_alu instid0(VALU_DEP_2) | instskip(NEXT) | instid1(VALU_DEP_2)
	v_lshlrev_b64 v[6:7], 3, v[6:7]
	v_lshlrev_b64 v[8:9], 3, v[8:9]
	s_delay_alu instid0(VALU_DEP_2) | instskip(NEXT) | instid1(VALU_DEP_3)
	v_add_co_u32 v6, vcc_lo, s0, v6
	v_add_co_ci_u32_e32 v7, vcc_lo, s1, v7, vcc_lo
	s_delay_alu instid0(VALU_DEP_3) | instskip(NEXT) | instid1(VALU_DEP_4)
	v_add_co_u32 v8, vcc_lo, s0, v8
	v_add_co_ci_u32_e32 v9, vcc_lo, s1, v9, vcc_lo
	v_add_co_u32 v0, vcc_lo, s12, v0
	s_clause 0x1
	global_load_b64 v[6:7], v[6:7], off
	global_load_b64 v[8:9], v[8:9], off
	v_add_co_ci_u32_e32 v1, vcc_lo, s15, v1, vcc_lo
	v_add_co_u32 v0, vcc_lo, v0, v10
	s_waitcnt vmcnt(2)
	v_mul_f32_e32 v21, s3, v5
	s_delay_alu instid0(VALU_DEP_3) | instskip(NEXT) | instid1(VALU_DEP_3)
	v_add_co_ci_u32_e32 v1, vcc_lo, 0, v1, vcc_lo
	v_add_co_u32 v10, vcc_lo, v0, s4
	s_delay_alu instid0(VALU_DEP_2)
	v_add_co_ci_u32_e32 v11, vcc_lo, s5, v1, vcc_lo
	global_load_b64 v[12:13], v[0:1], off
	s_clause 0x1
	global_load_b64 v[14:15], v[10:11], off
	global_load_b64 v[16:17], v[10:11], off offset:256
	global_load_b64 v[18:19], v[0:1], off offset:256
	v_mul_f32_e32 v5, s2, v5
	v_mul_f32_e32 v3, s3, v3
	s_delay_alu instid0(VALU_DEP_2) | instskip(NEXT) | instid1(VALU_DEP_2)
	v_fmac_f32_e32 v5, s3, v4
	v_fma_f32 v2, s2, v2, -v3
	s_waitcnt vmcnt(5)
	s_delay_alu instid0(VALU_DEP_2)
	v_mul_f32_e32 v24, v5, v7
	v_fma_f32 v3, s2, v4, -v21
	v_mul_f32_e32 v4, v20, v7
	s_waitcnt vmcnt(4)
	v_dual_mul_f32 v21, v2, v7 :: v_dual_mul_f32 v22, v20, v9
	v_mul_f32_e32 v23, v2, v9
	v_mul_f32_e32 v7, v3, v7
	;; [unrolled: 1-line block ×4, first 2 shown]
	v_fma_f32 v4, v2, v6, -v4
	v_fmac_f32_e32 v21, v20, v6
	v_fma_f32 v22, v2, v8, -v22
	v_fmac_f32_e32 v23, v20, v8
	;; [unrolled: 2-line block ×4, first 2 shown]
	s_waitcnt vmcnt(3)
	v_dual_add_f32 v2, v12, v4 :: v_dual_add_f32 v3, v13, v21
	s_waitcnt vmcnt(2)
	v_add_f32_e32 v4, v14, v22
	s_waitcnt vmcnt(1)
	v_dual_add_f32 v8, v16, v24 :: v_dual_add_f32 v5, v15, v23
	s_waitcnt vmcnt(0)
	v_dual_add_f32 v6, v18, v20 :: v_dual_add_f32 v7, v19, v7
	v_add_f32_e32 v9, v17, v9
	global_store_b64 v[0:1], v[2:3], off
	s_clause 0x1
	global_store_b64 v[10:11], v[4:5], off
	global_store_b64 v[0:1], v[6:7], off offset:256
	global_store_b64 v[10:11], v[8:9], off offset:256
.LBB48_6:
	s_nop 0
	s_sendmsg sendmsg(MSG_DEALLOC_VGPRS)
	s_endpgm
	.section	.rodata,"a",@progbits
	.p2align	6, 0x0
	.amdhsa_kernel _ZL34rocblas_ger_double_buffered_kernelILb0ELi64ELi16ELi2E19rocblas_complex_numIfE24rocblas_internal_val_ptrIS1_EPKPKS1_PKPS1_EvbiiT4_lT5_lllSC_lllT6_lmli
		.amdhsa_group_segment_fixed_size 0
		.amdhsa_private_segment_fixed_size 0
		.amdhsa_kernarg_size 132
		.amdhsa_user_sgpr_count 13
		.amdhsa_user_sgpr_dispatch_ptr 0
		.amdhsa_user_sgpr_queue_ptr 0
		.amdhsa_user_sgpr_kernarg_segment_ptr 1
		.amdhsa_user_sgpr_dispatch_id 0
		.amdhsa_user_sgpr_private_segment_size 0
		.amdhsa_wavefront_size32 1
		.amdhsa_uses_dynamic_stack 0
		.amdhsa_enable_private_segment 0
		.amdhsa_system_sgpr_workgroup_id_x 1
		.amdhsa_system_sgpr_workgroup_id_y 1
		.amdhsa_system_sgpr_workgroup_id_z 1
		.amdhsa_system_sgpr_workgroup_info 0
		.amdhsa_system_vgpr_workitem_id 1
		.amdhsa_next_free_vgpr 26
		.amdhsa_next_free_sgpr 26
		.amdhsa_reserve_vcc 1
		.amdhsa_float_round_mode_32 0
		.amdhsa_float_round_mode_16_64 0
		.amdhsa_float_denorm_mode_32 3
		.amdhsa_float_denorm_mode_16_64 3
		.amdhsa_dx10_clamp 1
		.amdhsa_ieee_mode 1
		.amdhsa_fp16_overflow 0
		.amdhsa_workgroup_processor_mode 1
		.amdhsa_memory_ordered 1
		.amdhsa_forward_progress 0
		.amdhsa_shared_vgpr_count 0
		.amdhsa_exception_fp_ieee_invalid_op 0
		.amdhsa_exception_fp_denorm_src 0
		.amdhsa_exception_fp_ieee_div_zero 0
		.amdhsa_exception_fp_ieee_overflow 0
		.amdhsa_exception_fp_ieee_underflow 0
		.amdhsa_exception_fp_ieee_inexact 0
		.amdhsa_exception_int_div_zero 0
	.end_amdhsa_kernel
	.section	.text._ZL34rocblas_ger_double_buffered_kernelILb0ELi64ELi16ELi2E19rocblas_complex_numIfE24rocblas_internal_val_ptrIS1_EPKPKS1_PKPS1_EvbiiT4_lT5_lllSC_lllT6_lmli,"axG",@progbits,_ZL34rocblas_ger_double_buffered_kernelILb0ELi64ELi16ELi2E19rocblas_complex_numIfE24rocblas_internal_val_ptrIS1_EPKPKS1_PKPS1_EvbiiT4_lT5_lllSC_lllT6_lmli,comdat
.Lfunc_end48:
	.size	_ZL34rocblas_ger_double_buffered_kernelILb0ELi64ELi16ELi2E19rocblas_complex_numIfE24rocblas_internal_val_ptrIS1_EPKPKS1_PKPS1_EvbiiT4_lT5_lllSC_lllT6_lmli, .Lfunc_end48-_ZL34rocblas_ger_double_buffered_kernelILb0ELi64ELi16ELi2E19rocblas_complex_numIfE24rocblas_internal_val_ptrIS1_EPKPKS1_PKPS1_EvbiiT4_lT5_lllSC_lllT6_lmli
                                        ; -- End function
	.section	.AMDGPU.csdata,"",@progbits
; Kernel info:
; codeLenInByte = 1104
; NumSgprs: 28
; NumVgprs: 26
; ScratchSize: 0
; MemoryBound: 0
; FloatMode: 240
; IeeeMode: 1
; LDSByteSize: 0 bytes/workgroup (compile time only)
; SGPRBlocks: 3
; VGPRBlocks: 3
; NumSGPRsForWavesPerEU: 28
; NumVGPRsForWavesPerEU: 26
; Occupancy: 16
; WaveLimiterHint : 1
; COMPUTE_PGM_RSRC2:SCRATCH_EN: 0
; COMPUTE_PGM_RSRC2:USER_SGPR: 13
; COMPUTE_PGM_RSRC2:TRAP_HANDLER: 0
; COMPUTE_PGM_RSRC2:TGID_X_EN: 1
; COMPUTE_PGM_RSRC2:TGID_Y_EN: 1
; COMPUTE_PGM_RSRC2:TGID_Z_EN: 1
; COMPUTE_PGM_RSRC2:TIDIG_COMP_CNT: 1
	.section	.text._ZL26rocblas_sger_gfx942_kernelILi256E19rocblas_complex_numIfEPKS1_PKS3_PKPS1_EviiT1_lT2_lllSA_lllT3_lll,"axG",@progbits,_ZL26rocblas_sger_gfx942_kernelILi256E19rocblas_complex_numIfEPKS1_PKS3_PKPS1_EviiT1_lT2_lllSA_lllT3_lll,comdat
	.globl	_ZL26rocblas_sger_gfx942_kernelILi256E19rocblas_complex_numIfEPKS1_PKS3_PKPS1_EviiT1_lT2_lllSA_lllT3_lll ; -- Begin function _ZL26rocblas_sger_gfx942_kernelILi256E19rocblas_complex_numIfEPKS1_PKS3_PKPS1_EviiT1_lT2_lllSA_lllT3_lll
	.p2align	8
	.type	_ZL26rocblas_sger_gfx942_kernelILi256E19rocblas_complex_numIfEPKS1_PKS3_PKPS1_EviiT1_lT2_lllSA_lllT3_lll,@function
_ZL26rocblas_sger_gfx942_kernelILi256E19rocblas_complex_numIfEPKS1_PKS3_PKPS1_EviiT1_lT2_lllSA_lllT3_lll: ; @_ZL26rocblas_sger_gfx942_kernelILi256E19rocblas_complex_numIfEPKS1_PKS3_PKPS1_EviiT1_lT2_lllSA_lllT3_lll
; %bb.0:
	s_endpgm
	.section	.rodata,"a",@progbits
	.p2align	6, 0x0
	.amdhsa_kernel _ZL26rocblas_sger_gfx942_kernelILi256E19rocblas_complex_numIfEPKS1_PKS3_PKPS1_EviiT1_lT2_lllSA_lllT3_lll
		.amdhsa_group_segment_fixed_size 0
		.amdhsa_private_segment_fixed_size 0
		.amdhsa_kernarg_size 120
		.amdhsa_user_sgpr_count 15
		.amdhsa_user_sgpr_dispatch_ptr 0
		.amdhsa_user_sgpr_queue_ptr 0
		.amdhsa_user_sgpr_kernarg_segment_ptr 1
		.amdhsa_user_sgpr_dispatch_id 0
		.amdhsa_user_sgpr_private_segment_size 0
		.amdhsa_wavefront_size32 1
		.amdhsa_uses_dynamic_stack 0
		.amdhsa_enable_private_segment 0
		.amdhsa_system_sgpr_workgroup_id_x 1
		.amdhsa_system_sgpr_workgroup_id_y 0
		.amdhsa_system_sgpr_workgroup_id_z 0
		.amdhsa_system_sgpr_workgroup_info 0
		.amdhsa_system_vgpr_workitem_id 0
		.amdhsa_next_free_vgpr 1
		.amdhsa_next_free_sgpr 1
		.amdhsa_reserve_vcc 0
		.amdhsa_float_round_mode_32 0
		.amdhsa_float_round_mode_16_64 0
		.amdhsa_float_denorm_mode_32 3
		.amdhsa_float_denorm_mode_16_64 3
		.amdhsa_dx10_clamp 1
		.amdhsa_ieee_mode 1
		.amdhsa_fp16_overflow 0
		.amdhsa_workgroup_processor_mode 1
		.amdhsa_memory_ordered 1
		.amdhsa_forward_progress 0
		.amdhsa_shared_vgpr_count 0
		.amdhsa_exception_fp_ieee_invalid_op 0
		.amdhsa_exception_fp_denorm_src 0
		.amdhsa_exception_fp_ieee_div_zero 0
		.amdhsa_exception_fp_ieee_overflow 0
		.amdhsa_exception_fp_ieee_underflow 0
		.amdhsa_exception_fp_ieee_inexact 0
		.amdhsa_exception_int_div_zero 0
	.end_amdhsa_kernel
	.section	.text._ZL26rocblas_sger_gfx942_kernelILi256E19rocblas_complex_numIfEPKS1_PKS3_PKPS1_EviiT1_lT2_lllSA_lllT3_lll,"axG",@progbits,_ZL26rocblas_sger_gfx942_kernelILi256E19rocblas_complex_numIfEPKS1_PKS3_PKPS1_EviiT1_lT2_lllSA_lllT3_lll,comdat
.Lfunc_end49:
	.size	_ZL26rocblas_sger_gfx942_kernelILi256E19rocblas_complex_numIfEPKS1_PKS3_PKPS1_EviiT1_lT2_lllSA_lllT3_lll, .Lfunc_end49-_ZL26rocblas_sger_gfx942_kernelILi256E19rocblas_complex_numIfEPKS1_PKS3_PKPS1_EviiT1_lT2_lllSA_lllT3_lll
                                        ; -- End function
	.section	.AMDGPU.csdata,"",@progbits
; Kernel info:
; codeLenInByte = 4
; NumSgprs: 0
; NumVgprs: 0
; ScratchSize: 0
; MemoryBound: 0
; FloatMode: 240
; IeeeMode: 1
; LDSByteSize: 0 bytes/workgroup (compile time only)
; SGPRBlocks: 0
; VGPRBlocks: 0
; NumSGPRsForWavesPerEU: 1
; NumVGPRsForWavesPerEU: 1
; Occupancy: 16
; WaveLimiterHint : 0
; COMPUTE_PGM_RSRC2:SCRATCH_EN: 0
; COMPUTE_PGM_RSRC2:USER_SGPR: 15
; COMPUTE_PGM_RSRC2:TRAP_HANDLER: 0
; COMPUTE_PGM_RSRC2:TGID_X_EN: 1
; COMPUTE_PGM_RSRC2:TGID_Y_EN: 0
; COMPUTE_PGM_RSRC2:TGID_Z_EN: 0
; COMPUTE_PGM_RSRC2:TIDIG_COMP_CNT: 0
	.section	.text._ZL26rocblas_sger_gfx942_kernelILi256E19rocblas_complex_numIfES1_PKPKS1_PKPS1_EviiT1_lT2_lllSA_lllT3_lll,"axG",@progbits,_ZL26rocblas_sger_gfx942_kernelILi256E19rocblas_complex_numIfES1_PKPKS1_PKPS1_EviiT1_lT2_lllSA_lllT3_lll,comdat
	.globl	_ZL26rocblas_sger_gfx942_kernelILi256E19rocblas_complex_numIfES1_PKPKS1_PKPS1_EviiT1_lT2_lllSA_lllT3_lll ; -- Begin function _ZL26rocblas_sger_gfx942_kernelILi256E19rocblas_complex_numIfES1_PKPKS1_PKPS1_EviiT1_lT2_lllSA_lllT3_lll
	.p2align	8
	.type	_ZL26rocblas_sger_gfx942_kernelILi256E19rocblas_complex_numIfES1_PKPKS1_PKPS1_EviiT1_lT2_lllSA_lllT3_lll,@function
_ZL26rocblas_sger_gfx942_kernelILi256E19rocblas_complex_numIfES1_PKPKS1_PKPS1_EviiT1_lT2_lllSA_lllT3_lll: ; @_ZL26rocblas_sger_gfx942_kernelILi256E19rocblas_complex_numIfES1_PKPKS1_PKPS1_EviiT1_lT2_lllSA_lllT3_lll
; %bb.0:
	s_endpgm
	.section	.rodata,"a",@progbits
	.p2align	6, 0x0
	.amdhsa_kernel _ZL26rocblas_sger_gfx942_kernelILi256E19rocblas_complex_numIfES1_PKPKS1_PKPS1_EviiT1_lT2_lllSA_lllT3_lll
		.amdhsa_group_segment_fixed_size 0
		.amdhsa_private_segment_fixed_size 0
		.amdhsa_kernarg_size 120
		.amdhsa_user_sgpr_count 15
		.amdhsa_user_sgpr_dispatch_ptr 0
		.amdhsa_user_sgpr_queue_ptr 0
		.amdhsa_user_sgpr_kernarg_segment_ptr 1
		.amdhsa_user_sgpr_dispatch_id 0
		.amdhsa_user_sgpr_private_segment_size 0
		.amdhsa_wavefront_size32 1
		.amdhsa_uses_dynamic_stack 0
		.amdhsa_enable_private_segment 0
		.amdhsa_system_sgpr_workgroup_id_x 1
		.amdhsa_system_sgpr_workgroup_id_y 0
		.amdhsa_system_sgpr_workgroup_id_z 0
		.amdhsa_system_sgpr_workgroup_info 0
		.amdhsa_system_vgpr_workitem_id 0
		.amdhsa_next_free_vgpr 1
		.amdhsa_next_free_sgpr 1
		.amdhsa_reserve_vcc 0
		.amdhsa_float_round_mode_32 0
		.amdhsa_float_round_mode_16_64 0
		.amdhsa_float_denorm_mode_32 3
		.amdhsa_float_denorm_mode_16_64 3
		.amdhsa_dx10_clamp 1
		.amdhsa_ieee_mode 1
		.amdhsa_fp16_overflow 0
		.amdhsa_workgroup_processor_mode 1
		.amdhsa_memory_ordered 1
		.amdhsa_forward_progress 0
		.amdhsa_shared_vgpr_count 0
		.amdhsa_exception_fp_ieee_invalid_op 0
		.amdhsa_exception_fp_denorm_src 0
		.amdhsa_exception_fp_ieee_div_zero 0
		.amdhsa_exception_fp_ieee_overflow 0
		.amdhsa_exception_fp_ieee_underflow 0
		.amdhsa_exception_fp_ieee_inexact 0
		.amdhsa_exception_int_div_zero 0
	.end_amdhsa_kernel
	.section	.text._ZL26rocblas_sger_gfx942_kernelILi256E19rocblas_complex_numIfES1_PKPKS1_PKPS1_EviiT1_lT2_lllSA_lllT3_lll,"axG",@progbits,_ZL26rocblas_sger_gfx942_kernelILi256E19rocblas_complex_numIfES1_PKPKS1_PKPS1_EviiT1_lT2_lllSA_lllT3_lll,comdat
.Lfunc_end50:
	.size	_ZL26rocblas_sger_gfx942_kernelILi256E19rocblas_complex_numIfES1_PKPKS1_PKPS1_EviiT1_lT2_lllSA_lllT3_lll, .Lfunc_end50-_ZL26rocblas_sger_gfx942_kernelILi256E19rocblas_complex_numIfES1_PKPKS1_PKPS1_EviiT1_lT2_lllSA_lllT3_lll
                                        ; -- End function
	.section	.AMDGPU.csdata,"",@progbits
; Kernel info:
; codeLenInByte = 4
; NumSgprs: 0
; NumVgprs: 0
; ScratchSize: 0
; MemoryBound: 0
; FloatMode: 240
; IeeeMode: 1
; LDSByteSize: 0 bytes/workgroup (compile time only)
; SGPRBlocks: 0
; VGPRBlocks: 0
; NumSGPRsForWavesPerEU: 1
; NumVGPRsForWavesPerEU: 1
; Occupancy: 16
; WaveLimiterHint : 0
; COMPUTE_PGM_RSRC2:SCRATCH_EN: 0
; COMPUTE_PGM_RSRC2:USER_SGPR: 15
; COMPUTE_PGM_RSRC2:TRAP_HANDLER: 0
; COMPUTE_PGM_RSRC2:TGID_X_EN: 1
; COMPUTE_PGM_RSRC2:TGID_Y_EN: 0
; COMPUTE_PGM_RSRC2:TGID_Z_EN: 0
; COMPUTE_PGM_RSRC2:TIDIG_COMP_CNT: 0
	.section	.text._ZL19rocblas_sger_kernelILi1024E19rocblas_complex_numIfEPKS1_PKS3_PKPS1_EviiT1_lT2_lllSA_lllT3_lmli,"axG",@progbits,_ZL19rocblas_sger_kernelILi1024E19rocblas_complex_numIfEPKS1_PKS3_PKPS1_EviiT1_lT2_lllSA_lllT3_lmli,comdat
	.globl	_ZL19rocblas_sger_kernelILi1024E19rocblas_complex_numIfEPKS1_PKS3_PKPS1_EviiT1_lT2_lllSA_lllT3_lmli ; -- Begin function _ZL19rocblas_sger_kernelILi1024E19rocblas_complex_numIfEPKS1_PKS3_PKPS1_EviiT1_lT2_lllSA_lllT3_lmli
	.p2align	8
	.type	_ZL19rocblas_sger_kernelILi1024E19rocblas_complex_numIfEPKS1_PKS3_PKPS1_EviiT1_lT2_lllSA_lllT3_lmli,@function
_ZL19rocblas_sger_kernelILi1024E19rocblas_complex_numIfEPKS1_PKS3_PKPS1_EviiT1_lT2_lllSA_lllT3_lmli: ; @_ZL19rocblas_sger_kernelILi1024E19rocblas_complex_numIfEPKS1_PKS3_PKPS1_EviiT1_lT2_lllSA_lllT3_lmli
; %bb.0:
	s_load_b128 s[4:7], s[0:1], 0x8
	s_mov_b32 s13, 0
	s_waitcnt lgkmcnt(0)
	s_mul_i32 s3, s15, s7
	s_mul_hi_u32 s7, s15, s6
	s_mul_i32 s2, s15, s6
	s_add_i32 s3, s7, s3
	s_delay_alu instid0(SALU_CYCLE_1) | instskip(NEXT) | instid1(SALU_CYCLE_1)
	s_lshl_b64 s[2:3], s[2:3], 3
	s_add_u32 s2, s4, s2
	s_addc_u32 s3, s5, s3
	s_load_b64 s[2:3], s[2:3], 0x0
	s_waitcnt lgkmcnt(0)
	v_cmp_neq_f32_e64 s4, s2, 0
	v_cmp_neq_f32_e64 s5, s3, 0
	s_delay_alu instid0(VALU_DEP_1) | instskip(NEXT) | instid1(SALU_CYCLE_1)
	s_or_b32 s4, s4, s5
	s_and_not1_b32 vcc_lo, exec_lo, s4
	s_cbranch_vccnz .LBB51_4
; %bb.1:
	s_mov_b32 s12, s15
	s_load_b32 s15, s[0:1], 0x0
	s_waitcnt lgkmcnt(0)
	v_cmp_gt_i32_e32 vcc_lo, s15, v0
	s_and_saveexec_b32 s4, vcc_lo
	s_cbranch_execz .LBB51_4
; %bb.2:
	s_clause 0x3
	s_load_b64 s[20:21], s[0:1], 0x18
	s_load_b64 s[22:23], s[0:1], 0x38
	s_load_b128 s[4:7], s[0:1], 0x20
	s_load_b128 s[8:11], s[0:1], 0x40
	s_lshl_b64 s[12:13], s[12:13], 3
	s_load_b128 s[16:19], s[0:1], 0x60
	v_cndmask_b32_e32 v3, 0, v0, vcc_lo
	s_delay_alu instid0(VALU_DEP_1)
	v_lshlrev_b32_e32 v5, 3, v3
	s_waitcnt lgkmcnt(0)
	s_add_u32 s20, s20, s12
	s_addc_u32 s21, s21, s13
	s_add_u32 s22, s22, s12
	s_addc_u32 s23, s23, s13
	s_lshl_b64 s[8:9], s[8:9], 3
	s_load_b64 s[22:23], s[22:23], 0x0
	s_load_b64 s[0:1], s[0:1], 0x58
	s_mul_i32 s11, s14, s11
	s_mul_hi_u32 s25, s14, s10
	s_mul_i32 s24, s14, s10
	s_mul_hi_u32 s26, s18, s14
	s_mul_i32 s19, s19, s14
	v_mad_u64_u32 v[1:2], null, s6, v0, 0
	s_delay_alu instid0(VALU_DEP_1) | instskip(SKIP_4) | instid1(VALU_DEP_1)
	v_mad_u64_u32 v[3:4], null, s7, v0, v[2:3]
	s_waitcnt lgkmcnt(0)
	s_add_u32 s22, s22, s8
	s_addc_u32 s9, s23, s9
	s_add_u32 s0, s0, s12
	v_mov_b32_e32 v2, v3
	s_addc_u32 s1, s1, s13
	s_mul_i32 s8, s18, s14
	s_ashr_i32 s14, s14, 31
	s_add_i32 s12, s25, s11
	s_mul_i32 s13, s14, s10
	s_load_b64 s[0:1], s[0:1], 0x0
	s_add_i32 s25, s12, s13
	s_load_b64 s[10:11], s[20:21], 0x0
	s_lshl_b64 s[12:13], s[24:25], 3
	s_mul_i32 s14, s18, s14
	s_add_u32 s12, s22, s12
	s_addc_u32 s13, s9, s13
	s_add_i32 s9, s26, s14
	s_load_b64 s[12:13], s[12:13], 0x0
	s_add_i32 s9, s9, s19
	s_lshl_b64 s[16:17], s[16:17], 3
	s_lshl_b64 s[8:9], s[8:9], 3
	v_lshlrev_b64 v[1:2], 3, v[1:2]
	s_add_u32 s8, s8, s16
	s_addc_u32 s9, s9, s17
	s_waitcnt lgkmcnt(0)
	s_add_u32 s8, s0, s8
	s_addc_u32 s9, s1, s9
	s_lshl_b64 s[0:1], s[4:5], 3
	v_add_co_u32 v3, s4, s8, v5
	s_add_u32 s0, s10, s0
	v_add_co_ci_u32_e64 v4, null, s9, 0, s4
	s_addc_u32 s1, s11, s1
	v_add_co_u32 v7, vcc_lo, s0, v1
	v_add_co_ci_u32_e32 v8, vcc_lo, s1, v2, vcc_lo
	v_mul_f32_e64 v6, s3, s13
	v_mul_f32_e64 v5, s2, s13
	v_add_co_u32 v1, vcc_lo, v3, 4
	v_add_co_ci_u32_e32 v2, vcc_lo, 0, v4, vcc_lo
	v_add_co_u32 v3, vcc_lo, v7, 4
	v_fma_f32 v6, s2, s12, -v6
	v_fmac_f32_e64 v5, s3, s12
	v_add_co_ci_u32_e32 v4, vcc_lo, 0, v8, vcc_lo
	s_mov_b32 s1, 0
	s_lshl_b64 s[2:3], s[6:7], 13
	.p2align	6
.LBB51_3:                               ; =>This Inner Loop Header: Depth=1
	global_load_b64 v[7:8], v[3:4], off offset:-4
	global_load_b64 v[9:10], v[1:2], off offset:-4
	v_add_co_u32 v3, vcc_lo, v3, s2
	v_add_co_ci_u32_e32 v4, vcc_lo, s3, v4, vcc_lo
	s_waitcnt vmcnt(1)
	v_mul_f32_e32 v11, v5, v8
	v_mul_f32_e32 v8, v6, v8
	s_delay_alu instid0(VALU_DEP_2) | instskip(NEXT) | instid1(VALU_DEP_2)
	v_fma_f32 v11, v6, v7, -v11
	v_fmac_f32_e32 v8, v5, v7
	s_waitcnt vmcnt(0)
	s_delay_alu instid0(VALU_DEP_2) | instskip(NEXT) | instid1(VALU_DEP_2)
	v_dual_add_f32 v7, v9, v11 :: v_dual_add_nc_u32 v0, 0x400, v0
	v_add_f32_e32 v8, v10, v8
	s_delay_alu instid0(VALU_DEP_2) | instskip(SKIP_2) | instid1(VALU_DEP_1)
	v_cmp_le_i32_e32 vcc_lo, s15, v0
	global_store_b64 v[1:2], v[7:8], off offset:-4
	v_add_co_u32 v1, s0, 0x2000, v1
	v_add_co_ci_u32_e64 v2, s0, 0, v2, s0
	s_or_b32 s1, vcc_lo, s1
	s_delay_alu instid0(SALU_CYCLE_1)
	s_and_not1_b32 exec_lo, exec_lo, s1
	s_cbranch_execnz .LBB51_3
.LBB51_4:
	s_nop 0
	s_sendmsg sendmsg(MSG_DEALLOC_VGPRS)
	s_endpgm
	.section	.rodata,"a",@progbits
	.p2align	6, 0x0
	.amdhsa_kernel _ZL19rocblas_sger_kernelILi1024E19rocblas_complex_numIfEPKS1_PKS3_PKPS1_EviiT1_lT2_lllSA_lllT3_lmli
		.amdhsa_group_segment_fixed_size 0
		.amdhsa_private_segment_fixed_size 0
		.amdhsa_kernarg_size 124
		.amdhsa_user_sgpr_count 14
		.amdhsa_user_sgpr_dispatch_ptr 0
		.amdhsa_user_sgpr_queue_ptr 0
		.amdhsa_user_sgpr_kernarg_segment_ptr 1
		.amdhsa_user_sgpr_dispatch_id 0
		.amdhsa_user_sgpr_private_segment_size 0
		.amdhsa_wavefront_size32 1
		.amdhsa_uses_dynamic_stack 0
		.amdhsa_enable_private_segment 0
		.amdhsa_system_sgpr_workgroup_id_x 1
		.amdhsa_system_sgpr_workgroup_id_y 0
		.amdhsa_system_sgpr_workgroup_id_z 1
		.amdhsa_system_sgpr_workgroup_info 0
		.amdhsa_system_vgpr_workitem_id 0
		.amdhsa_next_free_vgpr 12
		.amdhsa_next_free_sgpr 27
		.amdhsa_reserve_vcc 1
		.amdhsa_float_round_mode_32 0
		.amdhsa_float_round_mode_16_64 0
		.amdhsa_float_denorm_mode_32 3
		.amdhsa_float_denorm_mode_16_64 3
		.amdhsa_dx10_clamp 1
		.amdhsa_ieee_mode 1
		.amdhsa_fp16_overflow 0
		.amdhsa_workgroup_processor_mode 1
		.amdhsa_memory_ordered 1
		.amdhsa_forward_progress 0
		.amdhsa_shared_vgpr_count 0
		.amdhsa_exception_fp_ieee_invalid_op 0
		.amdhsa_exception_fp_denorm_src 0
		.amdhsa_exception_fp_ieee_div_zero 0
		.amdhsa_exception_fp_ieee_overflow 0
		.amdhsa_exception_fp_ieee_underflow 0
		.amdhsa_exception_fp_ieee_inexact 0
		.amdhsa_exception_int_div_zero 0
	.end_amdhsa_kernel
	.section	.text._ZL19rocblas_sger_kernelILi1024E19rocblas_complex_numIfEPKS1_PKS3_PKPS1_EviiT1_lT2_lllSA_lllT3_lmli,"axG",@progbits,_ZL19rocblas_sger_kernelILi1024E19rocblas_complex_numIfEPKS1_PKS3_PKPS1_EviiT1_lT2_lllSA_lllT3_lmli,comdat
.Lfunc_end51:
	.size	_ZL19rocblas_sger_kernelILi1024E19rocblas_complex_numIfEPKS1_PKS3_PKPS1_EviiT1_lT2_lllSA_lllT3_lmli, .Lfunc_end51-_ZL19rocblas_sger_kernelILi1024E19rocblas_complex_numIfEPKS1_PKS3_PKPS1_EviiT1_lT2_lllSA_lllT3_lmli
                                        ; -- End function
	.section	.AMDGPU.csdata,"",@progbits
; Kernel info:
; codeLenInByte = 636
; NumSgprs: 29
; NumVgprs: 12
; ScratchSize: 0
; MemoryBound: 0
; FloatMode: 240
; IeeeMode: 1
; LDSByteSize: 0 bytes/workgroup (compile time only)
; SGPRBlocks: 3
; VGPRBlocks: 1
; NumSGPRsForWavesPerEU: 29
; NumVGPRsForWavesPerEU: 12
; Occupancy: 16
; WaveLimiterHint : 1
; COMPUTE_PGM_RSRC2:SCRATCH_EN: 0
; COMPUTE_PGM_RSRC2:USER_SGPR: 14
; COMPUTE_PGM_RSRC2:TRAP_HANDLER: 0
; COMPUTE_PGM_RSRC2:TGID_X_EN: 1
; COMPUTE_PGM_RSRC2:TGID_Y_EN: 0
; COMPUTE_PGM_RSRC2:TGID_Z_EN: 1
; COMPUTE_PGM_RSRC2:TIDIG_COMP_CNT: 0
	.section	.text._ZL19rocblas_sger_kernelILi1024E19rocblas_complex_numIfES1_PKPKS1_PKPS1_EviiT1_lT2_lllSA_lllT3_lmli,"axG",@progbits,_ZL19rocblas_sger_kernelILi1024E19rocblas_complex_numIfES1_PKPKS1_PKPS1_EviiT1_lT2_lllSA_lllT3_lmli,comdat
	.globl	_ZL19rocblas_sger_kernelILi1024E19rocblas_complex_numIfES1_PKPKS1_PKPS1_EviiT1_lT2_lllSA_lllT3_lmli ; -- Begin function _ZL19rocblas_sger_kernelILi1024E19rocblas_complex_numIfES1_PKPKS1_PKPS1_EviiT1_lT2_lllSA_lllT3_lmli
	.p2align	8
	.type	_ZL19rocblas_sger_kernelILi1024E19rocblas_complex_numIfES1_PKPKS1_PKPS1_EviiT1_lT2_lllSA_lllT3_lmli,@function
_ZL19rocblas_sger_kernelILi1024E19rocblas_complex_numIfES1_PKPKS1_PKPS1_EviiT1_lT2_lllSA_lllT3_lmli: ; @_ZL19rocblas_sger_kernelILi1024E19rocblas_complex_numIfES1_PKPKS1_PKPS1_EviiT1_lT2_lllSA_lllT3_lmli
; %bb.0:
	s_load_b64 s[12:13], s[0:1], 0x8
	s_waitcnt lgkmcnt(0)
	v_cmp_neq_f32_e64 s3, s12, 0
	v_cmp_neq_f32_e64 s4, s13, 0
	s_delay_alu instid0(VALU_DEP_1) | instskip(NEXT) | instid1(SALU_CYCLE_1)
	s_or_b32 s3, s3, s4
	s_and_not1_b32 vcc_lo, exec_lo, s3
	s_cbranch_vccnz .LBB52_4
; %bb.1:
	s_mov_b32 s2, s15
	s_load_b32 s15, s[0:1], 0x0
	s_waitcnt lgkmcnt(0)
	v_cmp_gt_i32_e32 vcc_lo, s15, v0
	s_and_saveexec_b32 s3, vcc_lo
	s_cbranch_execz .LBB52_4
; %bb.2:
	s_clause 0x2
	s_load_b64 s[20:21], s[0:1], 0x18
	s_load_b64 s[22:23], s[0:1], 0x38
	s_load_b128 s[4:7], s[0:1], 0x20
	s_mov_b32 s3, 0
	s_clause 0x1
	s_load_b128 s[8:11], s[0:1], 0x40
	s_load_b128 s[16:19], s[0:1], 0x60
	s_lshl_b64 s[24:25], s[2:3], 3
	v_cndmask_b32_e32 v3, 0, v0, vcc_lo
	s_delay_alu instid0(VALU_DEP_1)
	v_lshlrev_b32_e32 v5, 3, v3
	s_waitcnt lgkmcnt(0)
	s_add_u32 s20, s20, s24
	s_addc_u32 s21, s21, s25
	s_add_u32 s22, s22, s24
	s_addc_u32 s23, s23, s25
	s_lshl_b64 s[8:9], s[8:9], 3
	s_load_b64 s[22:23], s[22:23], 0x0
	s_load_b64 s[0:1], s[0:1], 0x58
	s_mul_i32 s29, s19, s14
	s_mul_i32 s2, s14, s11
	s_mul_hi_u32 s11, s14, s10
	s_mul_i32 s26, s14, s10
	s_mul_hi_u32 s28, s18, s14
	v_mad_u64_u32 v[1:2], null, s6, v0, 0
	s_delay_alu instid0(VALU_DEP_1) | instskip(SKIP_4) | instid1(VALU_DEP_1)
	v_mad_u64_u32 v[3:4], null, s7, v0, v[2:3]
	s_waitcnt lgkmcnt(0)
	s_add_u32 s19, s22, s8
	s_addc_u32 s9, s23, s9
	s_add_u32 s0, s0, s24
	v_mov_b32_e32 v2, v3
	s_addc_u32 s1, s1, s25
	s_mul_i32 s8, s18, s14
	s_ashr_i32 s14, s14, 31
	s_add_i32 s2, s11, s2
	s_mul_i32 s22, s14, s10
	s_load_b64 s[0:1], s[0:1], 0x0
	s_add_i32 s27, s2, s22
	s_load_b64 s[10:11], s[20:21], 0x0
	s_lshl_b64 s[20:21], s[26:27], 3
	s_mul_i32 s2, s18, s14
	s_add_u32 s18, s19, s20
	s_addc_u32 s19, s9, s21
	s_add_i32 s2, s28, s2
	s_load_b64 s[18:19], s[18:19], 0x0
	s_add_i32 s9, s2, s29
	s_lshl_b64 s[16:17], s[16:17], 3
	s_lshl_b64 s[8:9], s[8:9], 3
	v_lshlrev_b64 v[1:2], 3, v[1:2]
	s_add_u32 s2, s8, s16
	s_addc_u32 s8, s9, s17
	s_waitcnt lgkmcnt(0)
	s_add_u32 s2, s0, s2
	s_addc_u32 s8, s1, s8
	s_lshl_b64 s[0:1], s[4:5], 3
	v_add_co_u32 v3, s2, s2, v5
	s_add_u32 s0, s10, s0
	v_add_co_ci_u32_e64 v4, null, s8, 0, s2
	s_addc_u32 s1, s11, s1
	v_add_co_u32 v7, vcc_lo, s0, v1
	v_add_co_ci_u32_e32 v8, vcc_lo, s1, v2, vcc_lo
	v_mul_f32_e64 v6, s13, s19
	v_mul_f32_e64 v5, s12, s19
	v_add_co_u32 v1, vcc_lo, v3, 4
	v_add_co_ci_u32_e32 v2, vcc_lo, 0, v4, vcc_lo
	v_add_co_u32 v3, vcc_lo, v7, 4
	v_fma_f32 v6, s12, s18, -v6
	v_fmac_f32_e64 v5, s13, s18
	v_add_co_ci_u32_e32 v4, vcc_lo, 0, v8, vcc_lo
	s_lshl_b64 s[4:5], s[6:7], 13
	.p2align	6
.LBB52_3:                               ; =>This Inner Loop Header: Depth=1
	global_load_b64 v[7:8], v[3:4], off offset:-4
	global_load_b64 v[9:10], v[1:2], off offset:-4
	v_add_co_u32 v3, vcc_lo, v3, s4
	v_add_co_ci_u32_e32 v4, vcc_lo, s5, v4, vcc_lo
	s_waitcnt vmcnt(1)
	v_mul_f32_e32 v11, v5, v8
	v_mul_f32_e32 v8, v6, v8
	s_delay_alu instid0(VALU_DEP_2) | instskip(NEXT) | instid1(VALU_DEP_2)
	v_fma_f32 v11, v6, v7, -v11
	v_fmac_f32_e32 v8, v5, v7
	s_waitcnt vmcnt(0)
	s_delay_alu instid0(VALU_DEP_2) | instskip(NEXT) | instid1(VALU_DEP_2)
	v_dual_add_f32 v7, v9, v11 :: v_dual_add_nc_u32 v0, 0x400, v0
	v_add_f32_e32 v8, v10, v8
	s_delay_alu instid0(VALU_DEP_2) | instskip(SKIP_2) | instid1(VALU_DEP_1)
	v_cmp_le_i32_e32 vcc_lo, s15, v0
	global_store_b64 v[1:2], v[7:8], off offset:-4
	v_add_co_u32 v1, s0, 0x2000, v1
	v_add_co_ci_u32_e64 v2, s0, 0, v2, s0
	s_or_b32 s3, vcc_lo, s3
	s_delay_alu instid0(SALU_CYCLE_1)
	s_and_not1_b32 exec_lo, exec_lo, s3
	s_cbranch_execnz .LBB52_3
.LBB52_4:
	s_nop 0
	s_sendmsg sendmsg(MSG_DEALLOC_VGPRS)
	s_endpgm
	.section	.rodata,"a",@progbits
	.p2align	6, 0x0
	.amdhsa_kernel _ZL19rocblas_sger_kernelILi1024E19rocblas_complex_numIfES1_PKPKS1_PKPS1_EviiT1_lT2_lllSA_lllT3_lmli
		.amdhsa_group_segment_fixed_size 0
		.amdhsa_private_segment_fixed_size 0
		.amdhsa_kernarg_size 124
		.amdhsa_user_sgpr_count 14
		.amdhsa_user_sgpr_dispatch_ptr 0
		.amdhsa_user_sgpr_queue_ptr 0
		.amdhsa_user_sgpr_kernarg_segment_ptr 1
		.amdhsa_user_sgpr_dispatch_id 0
		.amdhsa_user_sgpr_private_segment_size 0
		.amdhsa_wavefront_size32 1
		.amdhsa_uses_dynamic_stack 0
		.amdhsa_enable_private_segment 0
		.amdhsa_system_sgpr_workgroup_id_x 1
		.amdhsa_system_sgpr_workgroup_id_y 0
		.amdhsa_system_sgpr_workgroup_id_z 1
		.amdhsa_system_sgpr_workgroup_info 0
		.amdhsa_system_vgpr_workitem_id 0
		.amdhsa_next_free_vgpr 12
		.amdhsa_next_free_sgpr 30
		.amdhsa_reserve_vcc 1
		.amdhsa_float_round_mode_32 0
		.amdhsa_float_round_mode_16_64 0
		.amdhsa_float_denorm_mode_32 3
		.amdhsa_float_denorm_mode_16_64 3
		.amdhsa_dx10_clamp 1
		.amdhsa_ieee_mode 1
		.amdhsa_fp16_overflow 0
		.amdhsa_workgroup_processor_mode 1
		.amdhsa_memory_ordered 1
		.amdhsa_forward_progress 0
		.amdhsa_shared_vgpr_count 0
		.amdhsa_exception_fp_ieee_invalid_op 0
		.amdhsa_exception_fp_denorm_src 0
		.amdhsa_exception_fp_ieee_div_zero 0
		.amdhsa_exception_fp_ieee_overflow 0
		.amdhsa_exception_fp_ieee_underflow 0
		.amdhsa_exception_fp_ieee_inexact 0
		.amdhsa_exception_int_div_zero 0
	.end_amdhsa_kernel
	.section	.text._ZL19rocblas_sger_kernelILi1024E19rocblas_complex_numIfES1_PKPKS1_PKPS1_EviiT1_lT2_lllSA_lllT3_lmli,"axG",@progbits,_ZL19rocblas_sger_kernelILi1024E19rocblas_complex_numIfES1_PKPKS1_PKPS1_EviiT1_lT2_lllSA_lllT3_lmli,comdat
.Lfunc_end52:
	.size	_ZL19rocblas_sger_kernelILi1024E19rocblas_complex_numIfES1_PKPKS1_PKPS1_EviiT1_lT2_lllSA_lllT3_lmli, .Lfunc_end52-_ZL19rocblas_sger_kernelILi1024E19rocblas_complex_numIfES1_PKPKS1_PKPS1_EviiT1_lT2_lllSA_lllT3_lmli
                                        ; -- End function
	.section	.AMDGPU.csdata,"",@progbits
; Kernel info:
; codeLenInByte = 592
; NumSgprs: 32
; NumVgprs: 12
; ScratchSize: 0
; MemoryBound: 0
; FloatMode: 240
; IeeeMode: 1
; LDSByteSize: 0 bytes/workgroup (compile time only)
; SGPRBlocks: 3
; VGPRBlocks: 1
; NumSGPRsForWavesPerEU: 32
; NumVGPRsForWavesPerEU: 12
; Occupancy: 16
; WaveLimiterHint : 1
; COMPUTE_PGM_RSRC2:SCRATCH_EN: 0
; COMPUTE_PGM_RSRC2:USER_SGPR: 14
; COMPUTE_PGM_RSRC2:TRAP_HANDLER: 0
; COMPUTE_PGM_RSRC2:TGID_X_EN: 1
; COMPUTE_PGM_RSRC2:TGID_Y_EN: 0
; COMPUTE_PGM_RSRC2:TGID_Z_EN: 1
; COMPUTE_PGM_RSRC2:TIDIG_COMP_CNT: 0
	.section	.text._ZL18rocblas_ger_kernelILi32ELi32ELi2ELb0E19rocblas_complex_numIfEPKS1_PKS3_PKPS1_EviiT4_lT5_lllSA_lllT6_lmli,"axG",@progbits,_ZL18rocblas_ger_kernelILi32ELi32ELi2ELb0E19rocblas_complex_numIfEPKS1_PKS3_PKPS1_EviiT4_lT5_lllSA_lllT6_lmli,comdat
	.globl	_ZL18rocblas_ger_kernelILi32ELi32ELi2ELb0E19rocblas_complex_numIfEPKS1_PKS3_PKPS1_EviiT4_lT5_lllSA_lllT6_lmli ; -- Begin function _ZL18rocblas_ger_kernelILi32ELi32ELi2ELb0E19rocblas_complex_numIfEPKS1_PKS3_PKPS1_EviiT4_lT5_lllSA_lllT6_lmli
	.p2align	8
	.type	_ZL18rocblas_ger_kernelILi32ELi32ELi2ELb0E19rocblas_complex_numIfEPKS1_PKS3_PKPS1_EviiT4_lT5_lllSA_lllT6_lmli,@function
_ZL18rocblas_ger_kernelILi32ELi32ELi2ELb0E19rocblas_complex_numIfEPKS1_PKS3_PKPS1_EviiT4_lT5_lllSA_lllT6_lmli: ; @_ZL18rocblas_ger_kernelILi32ELi32ELi2ELb0E19rocblas_complex_numIfEPKS1_PKS3_PKPS1_EviiT4_lT5_lllSA_lllT6_lmli
; %bb.0:
	s_clause 0x1
	s_load_b64 s[4:5], s[0:1], 0x0
	s_load_b128 s[16:19], s[0:1], 0x8
	s_waitcnt lgkmcnt(0)
	s_add_i32 s3, s4, -1
	s_mul_i32 s7, s15, s19
	s_ashr_i32 s6, s3, 31
	s_mul_hi_u32 s8, s15, s18
	s_lshr_b32 s6, s6, 27
	s_add_i32 s7, s8, s7
	s_add_i32 s3, s3, s6
	s_mul_i32 s6, s15, s18
	s_ashr_i32 s9, s3, 5
	s_lshl_b64 s[6:7], s[6:7], 3
	s_add_i32 s8, s9, 1
	s_add_u32 s6, s16, s6
	v_cvt_f32_u32_e32 v1, s8
	s_addc_u32 s7, s17, s7
	s_load_b64 s[6:7], s[6:7], 0x0
	s_delay_alu instid0(VALU_DEP_1) | instskip(SKIP_2) | instid1(VALU_DEP_1)
	v_rcp_iflag_f32_e32 v1, v1
	s_waitcnt_depctr 0xfff
	v_mul_f32_e32 v1, 0x4f7ffffe, v1
	v_cvt_u32_f32_e32 v1, v1
	s_waitcnt lgkmcnt(0)
	s_or_b32 s3, s6, s7
	s_delay_alu instid0(SALU_CYCLE_1) | instskip(NEXT) | instid1(VALU_DEP_1)
	s_bitset0_b32 s3, 31
	v_readfirstlane_b32 s10, v1
	s_cmp_eq_u32 s3, 0
	s_mov_b32 s3, 0
	s_cbranch_scc1 .LBB53_14
; %bb.1:
	s_not_b32 s9, s9
	s_clause 0x1
	s_load_b64 s[16:17], s[0:1], 0x38
	s_load_b64 s[18:19], s[0:1], 0x58
	s_mul_i32 s9, s9, s10
	s_mov_b32 s2, s15
	s_mul_hi_u32 s9, s10, s9
	v_and_b32_e32 v3, 0x3ff, v0
	s_add_i32 s10, s10, s9
	v_bfe_u32 v4, v0, 10, 10
	s_mul_hi_u32 s9, s14, s10
	s_delay_alu instid0(SALU_CYCLE_1) | instskip(SKIP_2) | instid1(SALU_CYCLE_1)
	s_mul_i32 s10, s9, s8
	s_add_i32 s11, s9, 1
	s_sub_i32 s10, s14, s10
	s_sub_i32 s12, s10, s8
	s_cmp_ge_u32 s10, s8
	s_cselect_b32 s9, s11, s9
	s_cselect_b32 s10, s12, s10
	s_add_i32 s11, s9, 1
	s_cmp_ge_u32 s10, s8
	s_cselect_b32 s12, s11, s9
	s_lshl_b64 s[10:11], s[2:3], 3
	s_mul_i32 s8, s12, s8
	s_delay_alu instid0(SALU_CYCLE_1)
	s_sub_i32 s13, s14, s8
	s_waitcnt lgkmcnt(0)
	s_add_u32 s2, s16, s10
	s_addc_u32 s3, s17, s11
	s_add_u32 s8, s18, s10
	s_addc_u32 s9, s19, s11
	s_load_b64 s[2:3], s[2:3], 0x0
	s_load_b64 s[8:9], s[8:9], 0x0
	v_lshl_add_u32 v0, s13, 5, v3
	s_mov_b32 s13, exec_lo
	v_cmpx_eq_u32_e32 0, v4
	s_cbranch_execz .LBB53_5
; %bb.2:
	v_dual_mov_b32 v1, 0 :: v_dual_mov_b32 v2, 0
	s_mov_b32 s14, exec_lo
	v_cmpx_gt_i32_e64 s4, v0
	s_cbranch_execz .LBB53_4
; %bb.3:
	s_clause 0x1
	s_load_b64 s[20:21], s[0:1], 0x18
	s_load_b128 s[16:19], s[0:1], 0x20
	v_ashrrev_i32_e32 v1, 31, v0
	s_waitcnt lgkmcnt(0)
	s_add_u32 s10, s20, s10
	s_addc_u32 s11, s21, s11
	v_mul_lo_u32 v5, v0, s19
	s_load_b64 s[10:11], s[10:11], 0x0
	v_mul_lo_u32 v6, v1, s18
	v_mad_u64_u32 v[1:2], null, v0, s18, 0
	s_lshl_b64 s[16:17], s[16:17], 3
	s_delay_alu instid0(VALU_DEP_1) | instskip(NEXT) | instid1(VALU_DEP_1)
	v_add3_u32 v2, v2, v5, v6
	v_lshlrev_b64 v[1:2], 3, v[1:2]
	s_waitcnt lgkmcnt(0)
	s_add_u32 s10, s10, s16
	s_addc_u32 s11, s11, s17
	s_delay_alu instid0(VALU_DEP_1) | instskip(NEXT) | instid1(VALU_DEP_2)
	v_add_co_u32 v1, vcc_lo, s10, v1
	v_add_co_ci_u32_e32 v2, vcc_lo, s11, v2, vcc_lo
	global_load_b64 v[1:2], v[1:2], off
.LBB53_4:
	s_or_b32 exec_lo, exec_lo, s14
	v_lshlrev_b32_e32 v5, 3, v3
	s_waitcnt vmcnt(0)
	ds_store_b64 v5, v[1:2] offset:512
.LBB53_5:
	s_or_b32 exec_lo, exec_lo, s13
	v_lshlrev_b32_e32 v5, 1, v4
	s_mov_b32 s10, exec_lo
	s_delay_alu instid0(VALU_DEP_1)
	v_lshl_add_u32 v4, s12, 6, v5
	v_cmpx_gt_u32_e32 2, v3
	s_cbranch_execz .LBB53_9
; %bb.6:
	s_delay_alu instid0(VALU_DEP_2) | instskip(SKIP_2) | instid1(VALU_DEP_2)
	v_or_b32_e32 v6, v4, v3
	v_dual_mov_b32 v1, 0 :: v_dual_mov_b32 v2, 0
	s_mov_b32 s11, exec_lo
	v_cmpx_gt_u32_e64 s5, v6
	s_cbranch_execz .LBB53_8
; %bb.7:
	s_load_b128 s[12:15], s[0:1], 0x40
	s_waitcnt lgkmcnt(0)
	v_mad_u64_u32 v[1:2], null, v6, s14, 0
	s_lshl_b64 s[12:13], s[12:13], 3
	s_delay_alu instid0(SALU_CYCLE_1) | instskip(SKIP_1) | instid1(VALU_DEP_1)
	s_add_u32 s2, s2, s12
	s_addc_u32 s3, s3, s13
	v_mad_u64_u32 v[7:8], null, v6, s15, v[2:3]
	s_delay_alu instid0(VALU_DEP_1) | instskip(NEXT) | instid1(VALU_DEP_1)
	v_mov_b32_e32 v2, v7
	v_lshlrev_b64 v[1:2], 3, v[1:2]
	s_delay_alu instid0(VALU_DEP_1) | instskip(NEXT) | instid1(VALU_DEP_2)
	v_add_co_u32 v1, vcc_lo, s2, v1
	v_add_co_ci_u32_e32 v2, vcc_lo, s3, v2, vcc_lo
	global_load_b64 v[1:2], v[1:2], off
.LBB53_8:
	s_or_b32 exec_lo, exec_lo, s11
	v_or_b32_e32 v6, v5, v3
	s_delay_alu instid0(VALU_DEP_1)
	v_lshlrev_b32_e32 v6, 3, v6
	s_waitcnt vmcnt(0)
	ds_store_b64 v6, v[1:2]
.LBB53_9:
	s_or_b32 exec_lo, exec_lo, s10
	s_waitcnt lgkmcnt(0)
	s_barrier
	buffer_gl0_inv
	s_mov_b32 s2, exec_lo
	v_cmpx_gt_i32_e64 s4, v0
	s_cbranch_execz .LBB53_14
; %bb.10:
	v_lshlrev_b32_e32 v1, 3, v3
	s_load_b128 s[0:3], s[0:1], 0x60
	ds_load_b64 v[2:3], v1 offset:512
	v_ashrrev_i32_e32 v1, 31, v0
	s_delay_alu instid0(VALU_DEP_1) | instskip(SKIP_2) | instid1(SALU_CYCLE_1)
	v_lshlrev_b64 v[6:7], 3, v[0:1]
	s_waitcnt lgkmcnt(0)
	s_lshl_b64 s[0:1], s[0:1], 3
	s_add_u32 s0, s8, s0
	s_addc_u32 s1, s9, s1
	v_mul_f32_e32 v1, s7, v3
	v_mul_f32_e32 v0, s6, v3
	v_add_co_u32 v3, s0, s0, v6
	s_delay_alu instid0(VALU_DEP_1) | instskip(NEXT) | instid1(VALU_DEP_4)
	v_add_co_ci_u32_e64 v6, s0, s1, v7, s0
	v_fma_f32 v1, v2, s6, -v1
	s_delay_alu instid0(VALU_DEP_4)
	v_fmac_f32_e32 v0, s7, v2
	v_lshlrev_b32_e32 v2, 3, v5
	s_mov_b32 s0, exec_lo
	v_cmpx_gt_i32_e64 s5, v4
	s_cbranch_execz .LBB53_12
; %bb.11:
	v_ashrrev_i32_e32 v5, 31, v4
	v_mul_lo_u32 v9, v4, s3
	v_mad_u64_u32 v[7:8], null, v4, s2, 0
	ds_load_b64 v[11:12], v2
	v_mul_lo_u32 v5, v5, s2
	s_delay_alu instid0(VALU_DEP_1) | instskip(NEXT) | instid1(VALU_DEP_1)
	v_add3_u32 v8, v8, v9, v5
	v_lshlrev_b64 v[7:8], 3, v[7:8]
	s_waitcnt lgkmcnt(0)
	v_mul_f32_e32 v5, v0, v12
	s_delay_alu instid0(VALU_DEP_2) | instskip(NEXT) | instid1(VALU_DEP_3)
	v_add_co_u32 v7, vcc_lo, v3, v7
	v_add_co_ci_u32_e32 v8, vcc_lo, v6, v8, vcc_lo
	v_mul_f32_e32 v12, v1, v12
	s_delay_alu instid0(VALU_DEP_4) | instskip(SKIP_3) | instid1(VALU_DEP_1)
	v_fma_f32 v5, v1, v11, -v5
	global_load_b64 v[9:10], v[7:8], off
	s_waitcnt vmcnt(0)
	v_dual_fmac_f32 v12, v0, v11 :: v_dual_add_f32 v9, v9, v5
	v_add_f32_e32 v10, v10, v12
	global_store_b64 v[7:8], v[9:10], off
.LBB53_12:
	s_or_b32 exec_lo, exec_lo, s0
	v_or_b32_e32 v4, 1, v4
	s_delay_alu instid0(VALU_DEP_1)
	v_cmp_gt_i32_e32 vcc_lo, s5, v4
	s_and_b32 exec_lo, exec_lo, vcc_lo
	s_cbranch_execz .LBB53_14
; %bb.13:
	v_ashrrev_i32_e32 v5, 31, v4
	v_mul_lo_u32 v9, v4, s3
	v_mad_u64_u32 v[7:8], null, v4, s2, 0
	s_delay_alu instid0(VALU_DEP_3) | instskip(NEXT) | instid1(VALU_DEP_1)
	v_mul_lo_u32 v4, v5, s2
	v_add3_u32 v8, v8, v9, v4
	s_delay_alu instid0(VALU_DEP_1)
	v_lshlrev_b64 v[4:5], 3, v[7:8]
	ds_load_b64 v[7:8], v2 offset:8
	v_add_co_u32 v3, vcc_lo, v3, v4
	v_add_co_ci_u32_e32 v4, vcc_lo, v6, v5, vcc_lo
	global_load_b64 v[5:6], v[3:4], off
	s_waitcnt lgkmcnt(0)
	v_mul_f32_e32 v2, v0, v8
	v_mul_f32_e32 v8, v1, v8
	s_delay_alu instid0(VALU_DEP_2) | instskip(NEXT) | instid1(VALU_DEP_2)
	v_fma_f32 v1, v1, v7, -v2
	v_fmac_f32_e32 v8, v0, v7
	s_waitcnt vmcnt(0)
	s_delay_alu instid0(VALU_DEP_1)
	v_dual_add_f32 v0, v5, v1 :: v_dual_add_f32 v1, v6, v8
	global_store_b64 v[3:4], v[0:1], off
.LBB53_14:
	s_nop 0
	s_sendmsg sendmsg(MSG_DEALLOC_VGPRS)
	s_endpgm
	.section	.rodata,"a",@progbits
	.p2align	6, 0x0
	.amdhsa_kernel _ZL18rocblas_ger_kernelILi32ELi32ELi2ELb0E19rocblas_complex_numIfEPKS1_PKS3_PKPS1_EviiT4_lT5_lllSA_lllT6_lmli
		.amdhsa_group_segment_fixed_size 768
		.amdhsa_private_segment_fixed_size 0
		.amdhsa_kernarg_size 124
		.amdhsa_user_sgpr_count 14
		.amdhsa_user_sgpr_dispatch_ptr 0
		.amdhsa_user_sgpr_queue_ptr 0
		.amdhsa_user_sgpr_kernarg_segment_ptr 1
		.amdhsa_user_sgpr_dispatch_id 0
		.amdhsa_user_sgpr_private_segment_size 0
		.amdhsa_wavefront_size32 1
		.amdhsa_uses_dynamic_stack 0
		.amdhsa_enable_private_segment 0
		.amdhsa_system_sgpr_workgroup_id_x 1
		.amdhsa_system_sgpr_workgroup_id_y 0
		.amdhsa_system_sgpr_workgroup_id_z 1
		.amdhsa_system_sgpr_workgroup_info 0
		.amdhsa_system_vgpr_workitem_id 1
		.amdhsa_next_free_vgpr 13
		.amdhsa_next_free_sgpr 22
		.amdhsa_reserve_vcc 1
		.amdhsa_float_round_mode_32 0
		.amdhsa_float_round_mode_16_64 0
		.amdhsa_float_denorm_mode_32 3
		.amdhsa_float_denorm_mode_16_64 3
		.amdhsa_dx10_clamp 1
		.amdhsa_ieee_mode 1
		.amdhsa_fp16_overflow 0
		.amdhsa_workgroup_processor_mode 1
		.amdhsa_memory_ordered 1
		.amdhsa_forward_progress 0
		.amdhsa_shared_vgpr_count 0
		.amdhsa_exception_fp_ieee_invalid_op 0
		.amdhsa_exception_fp_denorm_src 0
		.amdhsa_exception_fp_ieee_div_zero 0
		.amdhsa_exception_fp_ieee_overflow 0
		.amdhsa_exception_fp_ieee_underflow 0
		.amdhsa_exception_fp_ieee_inexact 0
		.amdhsa_exception_int_div_zero 0
	.end_amdhsa_kernel
	.section	.text._ZL18rocblas_ger_kernelILi32ELi32ELi2ELb0E19rocblas_complex_numIfEPKS1_PKS3_PKPS1_EviiT4_lT5_lllSA_lllT6_lmli,"axG",@progbits,_ZL18rocblas_ger_kernelILi32ELi32ELi2ELb0E19rocblas_complex_numIfEPKS1_PKS3_PKPS1_EviiT4_lT5_lllSA_lllT6_lmli,comdat
.Lfunc_end53:
	.size	_ZL18rocblas_ger_kernelILi32ELi32ELi2ELb0E19rocblas_complex_numIfEPKS1_PKS3_PKPS1_EviiT4_lT5_lllSA_lllT6_lmli, .Lfunc_end53-_ZL18rocblas_ger_kernelILi32ELi32ELi2ELb0E19rocblas_complex_numIfEPKS1_PKS3_PKPS1_EviiT4_lT5_lllSA_lllT6_lmli
                                        ; -- End function
	.section	.AMDGPU.csdata,"",@progbits
; Kernel info:
; codeLenInByte = 1116
; NumSgprs: 24
; NumVgprs: 13
; ScratchSize: 0
; MemoryBound: 0
; FloatMode: 240
; IeeeMode: 1
; LDSByteSize: 768 bytes/workgroup (compile time only)
; SGPRBlocks: 2
; VGPRBlocks: 1
; NumSGPRsForWavesPerEU: 24
; NumVGPRsForWavesPerEU: 13
; Occupancy: 16
; WaveLimiterHint : 1
; COMPUTE_PGM_RSRC2:SCRATCH_EN: 0
; COMPUTE_PGM_RSRC2:USER_SGPR: 14
; COMPUTE_PGM_RSRC2:TRAP_HANDLER: 0
; COMPUTE_PGM_RSRC2:TGID_X_EN: 1
; COMPUTE_PGM_RSRC2:TGID_Y_EN: 0
; COMPUTE_PGM_RSRC2:TGID_Z_EN: 1
; COMPUTE_PGM_RSRC2:TIDIG_COMP_CNT: 1
	.section	.text._ZL18rocblas_ger_kernelILi32ELi32ELi2ELb0E19rocblas_complex_numIfES1_PKPKS1_PKPS1_EviiT4_lT5_lllSA_lllT6_lmli,"axG",@progbits,_ZL18rocblas_ger_kernelILi32ELi32ELi2ELb0E19rocblas_complex_numIfES1_PKPKS1_PKPS1_EviiT4_lT5_lllSA_lllT6_lmli,comdat
	.globl	_ZL18rocblas_ger_kernelILi32ELi32ELi2ELb0E19rocblas_complex_numIfES1_PKPKS1_PKPS1_EviiT4_lT5_lllSA_lllT6_lmli ; -- Begin function _ZL18rocblas_ger_kernelILi32ELi32ELi2ELb0E19rocblas_complex_numIfES1_PKPKS1_PKPS1_EviiT4_lT5_lllSA_lllT6_lmli
	.p2align	8
	.type	_ZL18rocblas_ger_kernelILi32ELi32ELi2ELb0E19rocblas_complex_numIfES1_PKPKS1_PKPS1_EviiT4_lT5_lllSA_lllT6_lmli,@function
_ZL18rocblas_ger_kernelILi32ELi32ELi2ELb0E19rocblas_complex_numIfES1_PKPKS1_PKPS1_EviiT4_lT5_lllSA_lllT6_lmli: ; @_ZL18rocblas_ger_kernelILi32ELi32ELi2ELb0E19rocblas_complex_numIfES1_PKPKS1_PKPS1_EviiT4_lT5_lllSA_lllT6_lmli
; %bb.0:
	s_load_b128 s[4:7], s[0:1], 0x0
	s_waitcnt lgkmcnt(0)
	s_add_i32 s3, s4, -1
	s_delay_alu instid0(SALU_CYCLE_1) | instskip(NEXT) | instid1(SALU_CYCLE_1)
	s_ashr_i32 s8, s3, 31
	s_lshr_b32 s8, s8, 27
	s_delay_alu instid0(SALU_CYCLE_1) | instskip(NEXT) | instid1(SALU_CYCLE_1)
	s_add_i32 s3, s3, s8
	s_ashr_i32 s9, s3, 5
	s_or_b32 s3, s6, s7
	s_add_i32 s8, s9, 1
	s_bitset0_b32 s3, 31
	v_cvt_f32_u32_e32 v1, s8
	s_cmp_eq_u32 s3, 0
	s_mov_b32 s3, 0
	s_delay_alu instid0(VALU_DEP_1) | instskip(SKIP_2) | instid1(VALU_DEP_1)
	v_rcp_iflag_f32_e32 v1, v1
	s_waitcnt_depctr 0xfff
	v_mul_f32_e32 v1, 0x4f7ffffe, v1
	v_cvt_u32_f32_e32 v1, v1
	s_delay_alu instid0(VALU_DEP_1)
	v_readfirstlane_b32 s10, v1
	s_cbranch_scc1 .LBB54_14
; %bb.1:
	s_not_b32 s9, s9
	s_clause 0x1
	s_load_b64 s[16:17], s[0:1], 0x38
	s_load_b64 s[18:19], s[0:1], 0x58
	s_mul_i32 s9, s9, s10
	s_mov_b32 s2, s15
	s_mul_hi_u32 s9, s10, s9
	v_and_b32_e32 v3, 0x3ff, v0
	s_add_i32 s10, s10, s9
	v_bfe_u32 v4, v0, 10, 10
	s_mul_hi_u32 s9, s14, s10
	s_delay_alu instid0(SALU_CYCLE_1) | instskip(SKIP_2) | instid1(SALU_CYCLE_1)
	s_mul_i32 s10, s9, s8
	s_add_i32 s11, s9, 1
	s_sub_i32 s10, s14, s10
	s_sub_i32 s12, s10, s8
	s_cmp_ge_u32 s10, s8
	s_cselect_b32 s9, s11, s9
	s_cselect_b32 s10, s12, s10
	s_add_i32 s11, s9, 1
	s_cmp_ge_u32 s10, s8
	s_cselect_b32 s12, s11, s9
	s_lshl_b64 s[10:11], s[2:3], 3
	s_mul_i32 s8, s12, s8
	s_delay_alu instid0(SALU_CYCLE_1)
	s_sub_i32 s13, s14, s8
	s_waitcnt lgkmcnt(0)
	s_add_u32 s2, s16, s10
	s_addc_u32 s3, s17, s11
	s_add_u32 s8, s18, s10
	s_addc_u32 s9, s19, s11
	s_load_b64 s[2:3], s[2:3], 0x0
	s_load_b64 s[8:9], s[8:9], 0x0
	v_lshl_add_u32 v0, s13, 5, v3
	s_mov_b32 s13, exec_lo
	v_cmpx_eq_u32_e32 0, v4
	s_cbranch_execz .LBB54_5
; %bb.2:
	v_dual_mov_b32 v1, 0 :: v_dual_mov_b32 v2, 0
	s_mov_b32 s14, exec_lo
	v_cmpx_gt_i32_e64 s4, v0
	s_cbranch_execz .LBB54_4
; %bb.3:
	s_clause 0x1
	s_load_b64 s[20:21], s[0:1], 0x18
	s_load_b128 s[16:19], s[0:1], 0x20
	v_ashrrev_i32_e32 v1, 31, v0
	s_waitcnt lgkmcnt(0)
	s_add_u32 s10, s20, s10
	s_addc_u32 s11, s21, s11
	v_mul_lo_u32 v5, v0, s19
	s_load_b64 s[10:11], s[10:11], 0x0
	v_mul_lo_u32 v6, v1, s18
	v_mad_u64_u32 v[1:2], null, v0, s18, 0
	s_lshl_b64 s[16:17], s[16:17], 3
	s_delay_alu instid0(VALU_DEP_1) | instskip(NEXT) | instid1(VALU_DEP_1)
	v_add3_u32 v2, v2, v5, v6
	v_lshlrev_b64 v[1:2], 3, v[1:2]
	s_waitcnt lgkmcnt(0)
	s_add_u32 s10, s10, s16
	s_addc_u32 s11, s11, s17
	s_delay_alu instid0(VALU_DEP_1) | instskip(NEXT) | instid1(VALU_DEP_2)
	v_add_co_u32 v1, vcc_lo, s10, v1
	v_add_co_ci_u32_e32 v2, vcc_lo, s11, v2, vcc_lo
	global_load_b64 v[1:2], v[1:2], off
.LBB54_4:
	s_or_b32 exec_lo, exec_lo, s14
	v_lshlrev_b32_e32 v5, 3, v3
	s_waitcnt vmcnt(0)
	ds_store_b64 v5, v[1:2] offset:512
.LBB54_5:
	s_or_b32 exec_lo, exec_lo, s13
	v_lshlrev_b32_e32 v5, 1, v4
	s_mov_b32 s10, exec_lo
	s_delay_alu instid0(VALU_DEP_1)
	v_lshl_add_u32 v4, s12, 6, v5
	v_cmpx_gt_u32_e32 2, v3
	s_cbranch_execz .LBB54_9
; %bb.6:
	s_delay_alu instid0(VALU_DEP_2) | instskip(SKIP_2) | instid1(VALU_DEP_2)
	v_or_b32_e32 v6, v4, v3
	v_dual_mov_b32 v1, 0 :: v_dual_mov_b32 v2, 0
	s_mov_b32 s11, exec_lo
	v_cmpx_gt_u32_e64 s5, v6
	s_cbranch_execz .LBB54_8
; %bb.7:
	s_load_b128 s[12:15], s[0:1], 0x40
	s_waitcnt lgkmcnt(0)
	v_mad_u64_u32 v[1:2], null, v6, s14, 0
	s_lshl_b64 s[12:13], s[12:13], 3
	s_delay_alu instid0(SALU_CYCLE_1) | instskip(SKIP_1) | instid1(VALU_DEP_1)
	s_add_u32 s2, s2, s12
	s_addc_u32 s3, s3, s13
	v_mad_u64_u32 v[7:8], null, v6, s15, v[2:3]
	s_delay_alu instid0(VALU_DEP_1) | instskip(NEXT) | instid1(VALU_DEP_1)
	v_mov_b32_e32 v2, v7
	v_lshlrev_b64 v[1:2], 3, v[1:2]
	s_delay_alu instid0(VALU_DEP_1) | instskip(NEXT) | instid1(VALU_DEP_2)
	v_add_co_u32 v1, vcc_lo, s2, v1
	v_add_co_ci_u32_e32 v2, vcc_lo, s3, v2, vcc_lo
	global_load_b64 v[1:2], v[1:2], off
.LBB54_8:
	s_or_b32 exec_lo, exec_lo, s11
	v_or_b32_e32 v6, v5, v3
	s_delay_alu instid0(VALU_DEP_1)
	v_lshlrev_b32_e32 v6, 3, v6
	s_waitcnt vmcnt(0)
	ds_store_b64 v6, v[1:2]
.LBB54_9:
	s_or_b32 exec_lo, exec_lo, s10
	s_waitcnt lgkmcnt(0)
	s_barrier
	buffer_gl0_inv
	s_mov_b32 s2, exec_lo
	v_cmpx_gt_i32_e64 s4, v0
	s_cbranch_execz .LBB54_14
; %bb.10:
	v_lshlrev_b32_e32 v1, 3, v3
	s_load_b128 s[0:3], s[0:1], 0x60
	ds_load_b64 v[2:3], v1 offset:512
	v_ashrrev_i32_e32 v1, 31, v0
	s_delay_alu instid0(VALU_DEP_1) | instskip(SKIP_2) | instid1(SALU_CYCLE_1)
	v_lshlrev_b64 v[6:7], 3, v[0:1]
	s_waitcnt lgkmcnt(0)
	s_lshl_b64 s[0:1], s[0:1], 3
	s_add_u32 s0, s8, s0
	s_addc_u32 s1, s9, s1
	v_mul_f32_e32 v1, s7, v3
	v_mul_f32_e32 v0, s6, v3
	v_add_co_u32 v3, s0, s0, v6
	s_delay_alu instid0(VALU_DEP_1) | instskip(NEXT) | instid1(VALU_DEP_4)
	v_add_co_ci_u32_e64 v6, s0, s1, v7, s0
	v_fma_f32 v1, v2, s6, -v1
	s_delay_alu instid0(VALU_DEP_4)
	v_fmac_f32_e32 v0, s7, v2
	v_lshlrev_b32_e32 v2, 3, v5
	s_mov_b32 s0, exec_lo
	v_cmpx_gt_i32_e64 s5, v4
	s_cbranch_execz .LBB54_12
; %bb.11:
	v_ashrrev_i32_e32 v5, 31, v4
	v_mul_lo_u32 v9, v4, s3
	v_mad_u64_u32 v[7:8], null, v4, s2, 0
	ds_load_b64 v[11:12], v2
	v_mul_lo_u32 v5, v5, s2
	s_delay_alu instid0(VALU_DEP_1) | instskip(NEXT) | instid1(VALU_DEP_1)
	v_add3_u32 v8, v8, v9, v5
	v_lshlrev_b64 v[7:8], 3, v[7:8]
	s_waitcnt lgkmcnt(0)
	v_mul_f32_e32 v5, v0, v12
	s_delay_alu instid0(VALU_DEP_2) | instskip(NEXT) | instid1(VALU_DEP_3)
	v_add_co_u32 v7, vcc_lo, v3, v7
	v_add_co_ci_u32_e32 v8, vcc_lo, v6, v8, vcc_lo
	v_mul_f32_e32 v12, v1, v12
	s_delay_alu instid0(VALU_DEP_4) | instskip(SKIP_3) | instid1(VALU_DEP_1)
	v_fma_f32 v5, v1, v11, -v5
	global_load_b64 v[9:10], v[7:8], off
	s_waitcnt vmcnt(0)
	v_dual_fmac_f32 v12, v0, v11 :: v_dual_add_f32 v9, v9, v5
	v_add_f32_e32 v10, v10, v12
	global_store_b64 v[7:8], v[9:10], off
.LBB54_12:
	s_or_b32 exec_lo, exec_lo, s0
	v_or_b32_e32 v4, 1, v4
	s_delay_alu instid0(VALU_DEP_1)
	v_cmp_gt_i32_e32 vcc_lo, s5, v4
	s_and_b32 exec_lo, exec_lo, vcc_lo
	s_cbranch_execz .LBB54_14
; %bb.13:
	v_ashrrev_i32_e32 v5, 31, v4
	v_mul_lo_u32 v9, v4, s3
	v_mad_u64_u32 v[7:8], null, v4, s2, 0
	s_delay_alu instid0(VALU_DEP_3) | instskip(NEXT) | instid1(VALU_DEP_1)
	v_mul_lo_u32 v4, v5, s2
	v_add3_u32 v8, v8, v9, v4
	s_delay_alu instid0(VALU_DEP_1)
	v_lshlrev_b64 v[4:5], 3, v[7:8]
	ds_load_b64 v[7:8], v2 offset:8
	v_add_co_u32 v3, vcc_lo, v3, v4
	v_add_co_ci_u32_e32 v4, vcc_lo, v6, v5, vcc_lo
	global_load_b64 v[5:6], v[3:4], off
	s_waitcnt lgkmcnt(0)
	v_mul_f32_e32 v2, v0, v8
	v_mul_f32_e32 v8, v1, v8
	s_delay_alu instid0(VALU_DEP_2) | instskip(NEXT) | instid1(VALU_DEP_2)
	v_fma_f32 v1, v1, v7, -v2
	v_fmac_f32_e32 v8, v0, v7
	s_waitcnt vmcnt(0)
	s_delay_alu instid0(VALU_DEP_1)
	v_dual_add_f32 v0, v5, v1 :: v_dual_add_f32 v1, v6, v8
	global_store_b64 v[3:4], v[0:1], off
.LBB54_14:
	s_nop 0
	s_sendmsg sendmsg(MSG_DEALLOC_VGPRS)
	s_endpgm
	.section	.rodata,"a",@progbits
	.p2align	6, 0x0
	.amdhsa_kernel _ZL18rocblas_ger_kernelILi32ELi32ELi2ELb0E19rocblas_complex_numIfES1_PKPKS1_PKPS1_EviiT4_lT5_lllSA_lllT6_lmli
		.amdhsa_group_segment_fixed_size 768
		.amdhsa_private_segment_fixed_size 0
		.amdhsa_kernarg_size 124
		.amdhsa_user_sgpr_count 14
		.amdhsa_user_sgpr_dispatch_ptr 0
		.amdhsa_user_sgpr_queue_ptr 0
		.amdhsa_user_sgpr_kernarg_segment_ptr 1
		.amdhsa_user_sgpr_dispatch_id 0
		.amdhsa_user_sgpr_private_segment_size 0
		.amdhsa_wavefront_size32 1
		.amdhsa_uses_dynamic_stack 0
		.amdhsa_enable_private_segment 0
		.amdhsa_system_sgpr_workgroup_id_x 1
		.amdhsa_system_sgpr_workgroup_id_y 0
		.amdhsa_system_sgpr_workgroup_id_z 1
		.amdhsa_system_sgpr_workgroup_info 0
		.amdhsa_system_vgpr_workitem_id 1
		.amdhsa_next_free_vgpr 13
		.amdhsa_next_free_sgpr 22
		.amdhsa_reserve_vcc 1
		.amdhsa_float_round_mode_32 0
		.amdhsa_float_round_mode_16_64 0
		.amdhsa_float_denorm_mode_32 3
		.amdhsa_float_denorm_mode_16_64 3
		.amdhsa_dx10_clamp 1
		.amdhsa_ieee_mode 1
		.amdhsa_fp16_overflow 0
		.amdhsa_workgroup_processor_mode 1
		.amdhsa_memory_ordered 1
		.amdhsa_forward_progress 0
		.amdhsa_shared_vgpr_count 0
		.amdhsa_exception_fp_ieee_invalid_op 0
		.amdhsa_exception_fp_denorm_src 0
		.amdhsa_exception_fp_ieee_div_zero 0
		.amdhsa_exception_fp_ieee_overflow 0
		.amdhsa_exception_fp_ieee_underflow 0
		.amdhsa_exception_fp_ieee_inexact 0
		.amdhsa_exception_int_div_zero 0
	.end_amdhsa_kernel
	.section	.text._ZL18rocblas_ger_kernelILi32ELi32ELi2ELb0E19rocblas_complex_numIfES1_PKPKS1_PKPS1_EviiT4_lT5_lllSA_lllT6_lmli,"axG",@progbits,_ZL18rocblas_ger_kernelILi32ELi32ELi2ELb0E19rocblas_complex_numIfES1_PKPKS1_PKPS1_EviiT4_lT5_lllSA_lllT6_lmli,comdat
.Lfunc_end54:
	.size	_ZL18rocblas_ger_kernelILi32ELi32ELi2ELb0E19rocblas_complex_numIfES1_PKPKS1_PKPS1_EviiT4_lT5_lllSA_lllT6_lmli, .Lfunc_end54-_ZL18rocblas_ger_kernelILi32ELi32ELi2ELb0E19rocblas_complex_numIfES1_PKPKS1_PKPS1_EviiT4_lT5_lllSA_lllT6_lmli
                                        ; -- End function
	.section	.AMDGPU.csdata,"",@progbits
; Kernel info:
; codeLenInByte = 1072
; NumSgprs: 24
; NumVgprs: 13
; ScratchSize: 0
; MemoryBound: 0
; FloatMode: 240
; IeeeMode: 1
; LDSByteSize: 768 bytes/workgroup (compile time only)
; SGPRBlocks: 2
; VGPRBlocks: 1
; NumSGPRsForWavesPerEU: 24
; NumVGPRsForWavesPerEU: 13
; Occupancy: 16
; WaveLimiterHint : 1
; COMPUTE_PGM_RSRC2:SCRATCH_EN: 0
; COMPUTE_PGM_RSRC2:USER_SGPR: 14
; COMPUTE_PGM_RSRC2:TRAP_HANDLER: 0
; COMPUTE_PGM_RSRC2:TGID_X_EN: 1
; COMPUTE_PGM_RSRC2:TGID_Y_EN: 0
; COMPUTE_PGM_RSRC2:TGID_Z_EN: 1
; COMPUTE_PGM_RSRC2:TIDIG_COMP_CNT: 1
	.section	.text._ZL34rocblas_ger_double_buffered_kernelILb0ELi64ELi16ELi2E19rocblas_complex_numIdE24rocblas_internal_val_ptrIS1_EPKPKS1_PKPS1_EvbiiT4_lT5_lllSC_lllT6_lmli,"axG",@progbits,_ZL34rocblas_ger_double_buffered_kernelILb0ELi64ELi16ELi2E19rocblas_complex_numIdE24rocblas_internal_val_ptrIS1_EPKPKS1_PKPS1_EvbiiT4_lT5_lllSC_lllT6_lmli,comdat
	.globl	_ZL34rocblas_ger_double_buffered_kernelILb0ELi64ELi16ELi2E19rocblas_complex_numIdE24rocblas_internal_val_ptrIS1_EPKPKS1_PKPS1_EvbiiT4_lT5_lllSC_lllT6_lmli ; -- Begin function _ZL34rocblas_ger_double_buffered_kernelILb0ELi64ELi16ELi2E19rocblas_complex_numIdE24rocblas_internal_val_ptrIS1_EPKPKS1_PKPS1_EvbiiT4_lT5_lllSC_lllT6_lmli
	.p2align	8
	.type	_ZL34rocblas_ger_double_buffered_kernelILb0ELi64ELi16ELi2E19rocblas_complex_numIdE24rocblas_internal_val_ptrIS1_EPKPKS1_PKPS1_EvbiiT4_lT5_lllSC_lllT6_lmli,@function
_ZL34rocblas_ger_double_buffered_kernelILb0ELi64ELi16ELi2E19rocblas_complex_numIdE24rocblas_internal_val_ptrIS1_EPKPKS1_PKPS1_EvbiiT4_lT5_lllSC_lllT6_lmli: ; @_ZL34rocblas_ger_double_buffered_kernelILb0ELi64ELi16ELi2E19rocblas_complex_numIdE24rocblas_internal_val_ptrIS1_EPKPKS1_PKPS1_EvbiiT4_lT5_lllSC_lllT6_lmli
; %bb.0:
	s_clause 0x1
	s_load_b32 s3, s[0:1], 0x0
	s_load_b64 s[8:9], s[0:1], 0x10
	s_mov_b32 s2, s15
	s_waitcnt lgkmcnt(0)
	s_bitcmp0_b32 s3, 0
	s_mov_b32 s3, 0
	s_cbranch_scc0 .LBB55_2
; %bb.1:
	s_load_b64 s[4:5], s[0:1], 0x20
	s_waitcnt lgkmcnt(0)
	s_mul_i32 s5, s2, s5
	s_mul_hi_u32 s6, s2, s4
	s_mul_i32 s4, s2, s4
	s_add_i32 s5, s6, s5
	s_delay_alu instid0(SALU_CYCLE_1) | instskip(NEXT) | instid1(SALU_CYCLE_1)
	s_lshl_b64 s[4:5], s[4:5], 4
	s_add_u32 s4, s8, s4
	s_addc_u32 s5, s9, s5
	s_load_b128 s[4:7], s[4:5], 0x0
	s_and_not1_b32 vcc_lo, exec_lo, s3
	s_cbranch_vccz .LBB55_3
	s_branch .LBB55_4
.LBB55_2:
	s_mov_b32 s3, -1
                                        ; implicit-def: $sgpr6_sgpr7
.LBB55_3:
	s_waitcnt lgkmcnt(0)
	s_load_b64 s[6:7], s[0:1], 0x18
	s_mov_b32 s3, 0
	s_mov_b64 s[4:5], s[8:9]
.LBB55_4:
	s_waitcnt lgkmcnt(0)
	v_cmp_neq_f64_e64 s8, s[4:5], 0
	v_cmp_neq_f64_e64 s9, s[6:7], 0
	s_delay_alu instid0(VALU_DEP_1) | instskip(NEXT) | instid1(SALU_CYCLE_1)
	s_or_b32 s8, s8, s9
	s_and_not1_b32 vcc_lo, exec_lo, s8
	s_cbranch_vccnz .LBB55_6
; %bb.5:
	s_load_b64 s[16:17], s[0:1], 0x68
	s_lshl_b64 s[20:21], s[2:3], 3
	s_load_b128 s[8:11], s[0:1], 0x70
	v_and_b32_e32 v9, 0x3ff, v0
	v_bfe_u32 v0, v0, 10, 10
	s_delay_alu instid0(VALU_DEP_2) | instskip(NEXT) | instid1(VALU_DEP_1)
	v_and_b32_e32 v20, 31, v9
	v_or_b32_e32 v8, 32, v20
	s_waitcnt lgkmcnt(0)
	s_add_u32 s2, s16, s20
	s_addc_u32 s3, s17, s21
	s_load_b128 s[16:19], s[0:1], 0x50
	s_load_b64 s[2:3], s[2:3], 0x0
	s_load_b64 s[22:23], s[0:1], 0x48
	s_lshl_b64 s[8:9], s[8:9], 4
	s_waitcnt lgkmcnt(0)
	s_add_u32 s12, s2, s8
	s_addc_u32 s15, s3, s9
	s_add_u32 s2, s22, s20
	s_addc_u32 s3, s23, s21
	s_lshl_b64 s[16:17], s[16:17], 4
	s_load_b64 s[8:9], s[2:3], 0x0
	s_clause 0x1
	s_load_b64 s[22:23], s[0:1], 0x28
	s_load_b128 s[0:3], s[0:1], 0x30
	s_waitcnt lgkmcnt(0)
	s_add_u32 s16, s8, s16
	s_addc_u32 s17, s9, s17
	s_add_u32 s8, s22, s20
	s_addc_u32 s9, s23, s21
	v_mad_u64_u32 v[1:2], null, v20, s2, 0
	s_load_b64 s[8:9], s[8:9], 0x0
	v_mad_u64_u32 v[3:4], null, v8, s2, 0
	s_lshl_b64 s[0:1], s[0:1], 4
	s_delay_alu instid0(VALU_DEP_1) | instskip(NEXT) | instid1(VALU_DEP_1)
	v_mad_u64_u32 v[5:6], null, v20, s3, v[2:3]
	v_mov_b32_e32 v2, v5
	s_delay_alu instid0(VALU_DEP_3)
	v_mad_u64_u32 v[6:7], null, v8, s3, v[4:5]
	s_waitcnt lgkmcnt(0)
	s_add_u32 s20, s8, s0
	s_addc_u32 s21, s9, s1
	s_lshl_b32 s0, s13, 6
	v_lshl_add_u32 v0, v0, 6, v9
	s_ashr_i32 s1, s0, 31
	s_mul_i32 s3, s0, s3
	s_lshl_b64 s[8:9], s[0:1], 4
	s_mul_i32 s1, s1, s2
	s_add_u32 s12, s12, s8
	s_addc_u32 s13, s15, s9
	s_lshl_b32 s14, s14, 6
	v_lshrrev_b32_e32 v0, 4, v0
	s_mul_i32 s8, s14, s11
	s_mul_hi_u32 s9, s14, s10
	s_ashr_i32 s15, s14, 31
	s_add_i32 s9, s9, s8
	s_mul_i32 s22, s15, s10
	s_mul_i32 s8, s14, s10
	s_add_i32 s9, s9, s22
	s_mul_hi_u32 s22, s0, s2
	s_lshl_b64 s[8:9], s[8:9], 4
	v_dual_mov_b32 v4, v6 :: v_dual_and_b32 v21, 0x1ffe, v0
	s_add_u32 s8, s12, s8
	s_addc_u32 s9, s13, s9
	s_add_i32 s3, s22, s3
	s_mul_i32 s0, s0, s2
	s_add_i32 s1, s3, s1
	v_lshlrev_b64 v[1:2], 4, v[1:2]
	s_lshl_b64 s[0:1], s[0:1], 4
	v_lshlrev_b64 v[3:4], 4, v[3:4]
	s_add_u32 s0, s20, s0
	s_addc_u32 s1, s21, s1
	v_or_b32_e32 v15, 1, v0
	v_add_co_u32 v1, vcc_lo, s0, v1
	v_add_co_ci_u32_e32 v2, vcc_lo, s1, v2, vcc_lo
	v_add_co_u32 v5, vcc_lo, s0, v3
	v_add_co_ci_u32_e32 v6, vcc_lo, s1, v4, vcc_lo
	s_clause 0x1
	global_load_b128 v[1:4], v[1:2], off
	global_load_b128 v[5:8], v[5:6], off
	v_mad_u64_u32 v[9:10], null, v21, s18, 0
	v_mad_u64_u32 v[11:12], null, v15, s18, 0
	s_mul_i32 s0, s14, s19
	s_mul_hi_u32 s1, s14, s18
	s_mul_i32 s15, s15, s18
	s_add_i32 s1, s1, s0
	s_delay_alu instid0(VALU_DEP_2) | instskip(SKIP_1) | instid1(VALU_DEP_2)
	v_mov_b32_e32 v0, v10
	s_mul_i32 s0, s14, s18
	v_mov_b32_e32 v10, v12
	s_add_i32 s1, s1, s15
	s_lshl_b64 s[2:3], s[10:11], 4
	s_lshl_b64 s[0:1], s[0:1], 4
	v_mad_u64_u32 v[17:18], null, v21, s10, 0
	s_add_u32 s0, s16, s0
	s_addc_u32 s1, s17, s1
	s_waitcnt vmcnt(1)
	v_mad_u64_u32 v[12:13], null, v21, s19, v[0:1]
	v_mad_u64_u32 v[13:14], null, v15, s19, v[10:11]
	s_delay_alu instid0(VALU_DEP_3)
	v_mov_b32_e32 v0, v18
	v_mul_f64 v[37:38], s[4:5], v[3:4]
	v_mul_f64 v[3:4], s[6:7], v[3:4]
	s_waitcnt vmcnt(0)
	v_mul_f64 v[39:40], s[4:5], v[7:8]
	v_mov_b32_e32 v10, v12
	v_mad_u64_u32 v[18:19], null, v21, s11, v[0:1]
	v_mov_b32_e32 v12, v13
	v_lshlrev_b32_e32 v0, 4, v20
	s_delay_alu instid0(VALU_DEP_4) | instskip(SKIP_1) | instid1(VALU_DEP_4)
	v_lshlrev_b64 v[9:10], 4, v[9:10]
	v_mul_f64 v[7:8], s[6:7], v[7:8]
	v_lshlrev_b64 v[11:12], 4, v[11:12]
	v_lshlrev_b64 v[17:18], 4, v[17:18]
	s_delay_alu instid0(VALU_DEP_4) | instskip(SKIP_1) | instid1(VALU_DEP_4)
	v_add_co_u32 v9, vcc_lo, s0, v9
	v_add_co_ci_u32_e32 v10, vcc_lo, s1, v10, vcc_lo
	v_add_co_u32 v13, vcc_lo, s0, v11
	v_add_co_ci_u32_e32 v14, vcc_lo, s1, v12, vcc_lo
	s_clause 0x1
	global_load_b128 v[9:12], v[9:10], off
	global_load_b128 v[13:16], v[13:14], off
	v_add_co_u32 v17, vcc_lo, s8, v17
	v_add_co_ci_u32_e32 v18, vcc_lo, s9, v18, vcc_lo
	s_delay_alu instid0(VALU_DEP_2) | instskip(NEXT) | instid1(VALU_DEP_2)
	v_add_co_u32 v33, vcc_lo, v17, v0
	v_add_co_ci_u32_e32 v34, vcc_lo, 0, v18, vcc_lo
	s_delay_alu instid0(VALU_DEP_2) | instskip(NEXT) | instid1(VALU_DEP_2)
	v_add_co_u32 v35, vcc_lo, v33, s2
	v_add_co_ci_u32_e32 v36, vcc_lo, s3, v34, vcc_lo
	global_load_b128 v[17:20], v[33:34], off
	s_clause 0x1
	global_load_b128 v[21:24], v[35:36], off
	global_load_b128 v[25:28], v[33:34], off offset:512
	global_load_b128 v[29:32], v[35:36], off offset:512
	v_fma_f64 v[37:38], s[6:7], v[1:2], v[37:38]
	v_fma_f64 v[0:1], s[4:5], v[1:2], -v[3:4]
	v_fma_f64 v[2:3], s[6:7], v[5:6], v[39:40]
	v_fma_f64 v[4:5], s[4:5], v[5:6], -v[7:8]
	s_waitcnt vmcnt(5)
	s_delay_alu instid0(VALU_DEP_4) | instskip(NEXT) | instid1(VALU_DEP_4)
	v_mul_f64 v[6:7], v[37:38], v[11:12]
	v_mul_f64 v[39:40], v[0:1], v[11:12]
	s_waitcnt vmcnt(4)
	v_mul_f64 v[41:42], v[37:38], v[15:16]
	v_mul_f64 v[43:44], v[0:1], v[15:16]
	;; [unrolled: 1-line block ×6, first 2 shown]
	v_fma_f64 v[6:7], v[0:1], v[9:10], -v[6:7]
	v_fma_f64 v[39:40], v[37:38], v[9:10], v[39:40]
	v_fma_f64 v[41:42], v[0:1], v[13:14], -v[41:42]
	v_fma_f64 v[37:38], v[37:38], v[13:14], v[43:44]
	v_fma_f64 v[43:44], v[4:5], v[9:10], -v[45:46]
	v_fma_f64 v[10:11], v[2:3], v[9:10], v[11:12]
	v_fma_f64 v[45:46], v[4:5], v[13:14], -v[47:48]
	v_fma_f64 v[14:15], v[2:3], v[13:14], v[15:16]
	s_waitcnt vmcnt(3)
	v_add_f64 v[0:1], v[17:18], v[6:7]
	v_add_f64 v[2:3], v[19:20], v[39:40]
	s_waitcnt vmcnt(2)
	v_add_f64 v[4:5], v[21:22], v[41:42]
	v_add_f64 v[6:7], v[23:24], v[37:38]
	;; [unrolled: 3-line block ×4, first 2 shown]
	global_store_b128 v[33:34], v[0:3], off
	s_clause 0x1
	global_store_b128 v[35:36], v[4:7], off
	global_store_b128 v[33:34], v[8:11], off offset:512
	global_store_b128 v[35:36], v[12:15], off offset:512
.LBB55_6:
	s_nop 0
	s_sendmsg sendmsg(MSG_DEALLOC_VGPRS)
	s_endpgm
	.section	.rodata,"a",@progbits
	.p2align	6, 0x0
	.amdhsa_kernel _ZL34rocblas_ger_double_buffered_kernelILb0ELi64ELi16ELi2E19rocblas_complex_numIdE24rocblas_internal_val_ptrIS1_EPKPKS1_PKPS1_EvbiiT4_lT5_lllSC_lllT6_lmli
		.amdhsa_group_segment_fixed_size 0
		.amdhsa_private_segment_fixed_size 0
		.amdhsa_kernarg_size 140
		.amdhsa_user_sgpr_count 13
		.amdhsa_user_sgpr_dispatch_ptr 0
		.amdhsa_user_sgpr_queue_ptr 0
		.amdhsa_user_sgpr_kernarg_segment_ptr 1
		.amdhsa_user_sgpr_dispatch_id 0
		.amdhsa_user_sgpr_private_segment_size 0
		.amdhsa_wavefront_size32 1
		.amdhsa_uses_dynamic_stack 0
		.amdhsa_enable_private_segment 0
		.amdhsa_system_sgpr_workgroup_id_x 1
		.amdhsa_system_sgpr_workgroup_id_y 1
		.amdhsa_system_sgpr_workgroup_id_z 1
		.amdhsa_system_sgpr_workgroup_info 0
		.amdhsa_system_vgpr_workitem_id 1
		.amdhsa_next_free_vgpr 49
		.amdhsa_next_free_sgpr 24
		.amdhsa_reserve_vcc 1
		.amdhsa_float_round_mode_32 0
		.amdhsa_float_round_mode_16_64 0
		.amdhsa_float_denorm_mode_32 3
		.amdhsa_float_denorm_mode_16_64 3
		.amdhsa_dx10_clamp 1
		.amdhsa_ieee_mode 1
		.amdhsa_fp16_overflow 0
		.amdhsa_workgroup_processor_mode 1
		.amdhsa_memory_ordered 1
		.amdhsa_forward_progress 0
		.amdhsa_shared_vgpr_count 0
		.amdhsa_exception_fp_ieee_invalid_op 0
		.amdhsa_exception_fp_denorm_src 0
		.amdhsa_exception_fp_ieee_div_zero 0
		.amdhsa_exception_fp_ieee_overflow 0
		.amdhsa_exception_fp_ieee_underflow 0
		.amdhsa_exception_fp_ieee_inexact 0
		.amdhsa_exception_int_div_zero 0
	.end_amdhsa_kernel
	.section	.text._ZL34rocblas_ger_double_buffered_kernelILb0ELi64ELi16ELi2E19rocblas_complex_numIdE24rocblas_internal_val_ptrIS1_EPKPKS1_PKPS1_EvbiiT4_lT5_lllSC_lllT6_lmli,"axG",@progbits,_ZL34rocblas_ger_double_buffered_kernelILb0ELi64ELi16ELi2E19rocblas_complex_numIdE24rocblas_internal_val_ptrIS1_EPKPKS1_PKPS1_EvbiiT4_lT5_lllSC_lllT6_lmli,comdat
.Lfunc_end55:
	.size	_ZL34rocblas_ger_double_buffered_kernelILb0ELi64ELi16ELi2E19rocblas_complex_numIdE24rocblas_internal_val_ptrIS1_EPKPKS1_PKPS1_EvbiiT4_lT5_lllSC_lllT6_lmli, .Lfunc_end55-_ZL34rocblas_ger_double_buffered_kernelILb0ELi64ELi16ELi2E19rocblas_complex_numIdE24rocblas_internal_val_ptrIS1_EPKPKS1_PKPS1_EvbiiT4_lT5_lllSC_lllT6_lmli
                                        ; -- End function
	.section	.AMDGPU.csdata,"",@progbits
; Kernel info:
; codeLenInByte = 1196
; NumSgprs: 26
; NumVgprs: 49
; ScratchSize: 0
; MemoryBound: 0
; FloatMode: 240
; IeeeMode: 1
; LDSByteSize: 0 bytes/workgroup (compile time only)
; SGPRBlocks: 3
; VGPRBlocks: 6
; NumSGPRsForWavesPerEU: 26
; NumVGPRsForWavesPerEU: 49
; Occupancy: 16
; WaveLimiterHint : 1
; COMPUTE_PGM_RSRC2:SCRATCH_EN: 0
; COMPUTE_PGM_RSRC2:USER_SGPR: 13
; COMPUTE_PGM_RSRC2:TRAP_HANDLER: 0
; COMPUTE_PGM_RSRC2:TGID_X_EN: 1
; COMPUTE_PGM_RSRC2:TGID_Y_EN: 1
; COMPUTE_PGM_RSRC2:TGID_Z_EN: 1
; COMPUTE_PGM_RSRC2:TIDIG_COMP_CNT: 1
	.section	.text._ZL26rocblas_sger_gfx942_kernelILi256E19rocblas_complex_numIdEPKS1_PKS3_PKPS1_EviiT1_lT2_lllSA_lllT3_lll,"axG",@progbits,_ZL26rocblas_sger_gfx942_kernelILi256E19rocblas_complex_numIdEPKS1_PKS3_PKPS1_EviiT1_lT2_lllSA_lllT3_lll,comdat
	.globl	_ZL26rocblas_sger_gfx942_kernelILi256E19rocblas_complex_numIdEPKS1_PKS3_PKPS1_EviiT1_lT2_lllSA_lllT3_lll ; -- Begin function _ZL26rocblas_sger_gfx942_kernelILi256E19rocblas_complex_numIdEPKS1_PKS3_PKPS1_EviiT1_lT2_lllSA_lllT3_lll
	.p2align	8
	.type	_ZL26rocblas_sger_gfx942_kernelILi256E19rocblas_complex_numIdEPKS1_PKS3_PKPS1_EviiT1_lT2_lllSA_lllT3_lll,@function
_ZL26rocblas_sger_gfx942_kernelILi256E19rocblas_complex_numIdEPKS1_PKS3_PKPS1_EviiT1_lT2_lllSA_lllT3_lll: ; @_ZL26rocblas_sger_gfx942_kernelILi256E19rocblas_complex_numIdEPKS1_PKS3_PKPS1_EviiT1_lT2_lllSA_lllT3_lll
; %bb.0:
	s_endpgm
	.section	.rodata,"a",@progbits
	.p2align	6, 0x0
	.amdhsa_kernel _ZL26rocblas_sger_gfx942_kernelILi256E19rocblas_complex_numIdEPKS1_PKS3_PKPS1_EviiT1_lT2_lllSA_lllT3_lll
		.amdhsa_group_segment_fixed_size 0
		.amdhsa_private_segment_fixed_size 0
		.amdhsa_kernarg_size 120
		.amdhsa_user_sgpr_count 15
		.amdhsa_user_sgpr_dispatch_ptr 0
		.amdhsa_user_sgpr_queue_ptr 0
		.amdhsa_user_sgpr_kernarg_segment_ptr 1
		.amdhsa_user_sgpr_dispatch_id 0
		.amdhsa_user_sgpr_private_segment_size 0
		.amdhsa_wavefront_size32 1
		.amdhsa_uses_dynamic_stack 0
		.amdhsa_enable_private_segment 0
		.amdhsa_system_sgpr_workgroup_id_x 1
		.amdhsa_system_sgpr_workgroup_id_y 0
		.amdhsa_system_sgpr_workgroup_id_z 0
		.amdhsa_system_sgpr_workgroup_info 0
		.amdhsa_system_vgpr_workitem_id 0
		.amdhsa_next_free_vgpr 1
		.amdhsa_next_free_sgpr 1
		.amdhsa_reserve_vcc 0
		.amdhsa_float_round_mode_32 0
		.amdhsa_float_round_mode_16_64 0
		.amdhsa_float_denorm_mode_32 3
		.amdhsa_float_denorm_mode_16_64 3
		.amdhsa_dx10_clamp 1
		.amdhsa_ieee_mode 1
		.amdhsa_fp16_overflow 0
		.amdhsa_workgroup_processor_mode 1
		.amdhsa_memory_ordered 1
		.amdhsa_forward_progress 0
		.amdhsa_shared_vgpr_count 0
		.amdhsa_exception_fp_ieee_invalid_op 0
		.amdhsa_exception_fp_denorm_src 0
		.amdhsa_exception_fp_ieee_div_zero 0
		.amdhsa_exception_fp_ieee_overflow 0
		.amdhsa_exception_fp_ieee_underflow 0
		.amdhsa_exception_fp_ieee_inexact 0
		.amdhsa_exception_int_div_zero 0
	.end_amdhsa_kernel
	.section	.text._ZL26rocblas_sger_gfx942_kernelILi256E19rocblas_complex_numIdEPKS1_PKS3_PKPS1_EviiT1_lT2_lllSA_lllT3_lll,"axG",@progbits,_ZL26rocblas_sger_gfx942_kernelILi256E19rocblas_complex_numIdEPKS1_PKS3_PKPS1_EviiT1_lT2_lllSA_lllT3_lll,comdat
.Lfunc_end56:
	.size	_ZL26rocblas_sger_gfx942_kernelILi256E19rocblas_complex_numIdEPKS1_PKS3_PKPS1_EviiT1_lT2_lllSA_lllT3_lll, .Lfunc_end56-_ZL26rocblas_sger_gfx942_kernelILi256E19rocblas_complex_numIdEPKS1_PKS3_PKPS1_EviiT1_lT2_lllSA_lllT3_lll
                                        ; -- End function
	.section	.AMDGPU.csdata,"",@progbits
; Kernel info:
; codeLenInByte = 4
; NumSgprs: 0
; NumVgprs: 0
; ScratchSize: 0
; MemoryBound: 0
; FloatMode: 240
; IeeeMode: 1
; LDSByteSize: 0 bytes/workgroup (compile time only)
; SGPRBlocks: 0
; VGPRBlocks: 0
; NumSGPRsForWavesPerEU: 1
; NumVGPRsForWavesPerEU: 1
; Occupancy: 16
; WaveLimiterHint : 0
; COMPUTE_PGM_RSRC2:SCRATCH_EN: 0
; COMPUTE_PGM_RSRC2:USER_SGPR: 15
; COMPUTE_PGM_RSRC2:TRAP_HANDLER: 0
; COMPUTE_PGM_RSRC2:TGID_X_EN: 1
; COMPUTE_PGM_RSRC2:TGID_Y_EN: 0
; COMPUTE_PGM_RSRC2:TGID_Z_EN: 0
; COMPUTE_PGM_RSRC2:TIDIG_COMP_CNT: 0
	.section	.text._ZL26rocblas_sger_gfx942_kernelILi256E19rocblas_complex_numIdES1_PKPKS1_PKPS1_EviiT1_lT2_lllSA_lllT3_lll,"axG",@progbits,_ZL26rocblas_sger_gfx942_kernelILi256E19rocblas_complex_numIdES1_PKPKS1_PKPS1_EviiT1_lT2_lllSA_lllT3_lll,comdat
	.globl	_ZL26rocblas_sger_gfx942_kernelILi256E19rocblas_complex_numIdES1_PKPKS1_PKPS1_EviiT1_lT2_lllSA_lllT3_lll ; -- Begin function _ZL26rocblas_sger_gfx942_kernelILi256E19rocblas_complex_numIdES1_PKPKS1_PKPS1_EviiT1_lT2_lllSA_lllT3_lll
	.p2align	8
	.type	_ZL26rocblas_sger_gfx942_kernelILi256E19rocblas_complex_numIdES1_PKPKS1_PKPS1_EviiT1_lT2_lllSA_lllT3_lll,@function
_ZL26rocblas_sger_gfx942_kernelILi256E19rocblas_complex_numIdES1_PKPKS1_PKPS1_EviiT1_lT2_lllSA_lllT3_lll: ; @_ZL26rocblas_sger_gfx942_kernelILi256E19rocblas_complex_numIdES1_PKPKS1_PKPS1_EviiT1_lT2_lllSA_lllT3_lll
; %bb.0:
	s_endpgm
	.section	.rodata,"a",@progbits
	.p2align	6, 0x0
	.amdhsa_kernel _ZL26rocblas_sger_gfx942_kernelILi256E19rocblas_complex_numIdES1_PKPKS1_PKPS1_EviiT1_lT2_lllSA_lllT3_lll
		.amdhsa_group_segment_fixed_size 0
		.amdhsa_private_segment_fixed_size 0
		.amdhsa_kernarg_size 128
		.amdhsa_user_sgpr_count 15
		.amdhsa_user_sgpr_dispatch_ptr 0
		.amdhsa_user_sgpr_queue_ptr 0
		.amdhsa_user_sgpr_kernarg_segment_ptr 1
		.amdhsa_user_sgpr_dispatch_id 0
		.amdhsa_user_sgpr_private_segment_size 0
		.amdhsa_wavefront_size32 1
		.amdhsa_uses_dynamic_stack 0
		.amdhsa_enable_private_segment 0
		.amdhsa_system_sgpr_workgroup_id_x 1
		.amdhsa_system_sgpr_workgroup_id_y 0
		.amdhsa_system_sgpr_workgroup_id_z 0
		.amdhsa_system_sgpr_workgroup_info 0
		.amdhsa_system_vgpr_workitem_id 0
		.amdhsa_next_free_vgpr 1
		.amdhsa_next_free_sgpr 1
		.amdhsa_reserve_vcc 0
		.amdhsa_float_round_mode_32 0
		.amdhsa_float_round_mode_16_64 0
		.amdhsa_float_denorm_mode_32 3
		.amdhsa_float_denorm_mode_16_64 3
		.amdhsa_dx10_clamp 1
		.amdhsa_ieee_mode 1
		.amdhsa_fp16_overflow 0
		.amdhsa_workgroup_processor_mode 1
		.amdhsa_memory_ordered 1
		.amdhsa_forward_progress 0
		.amdhsa_shared_vgpr_count 0
		.amdhsa_exception_fp_ieee_invalid_op 0
		.amdhsa_exception_fp_denorm_src 0
		.amdhsa_exception_fp_ieee_div_zero 0
		.amdhsa_exception_fp_ieee_overflow 0
		.amdhsa_exception_fp_ieee_underflow 0
		.amdhsa_exception_fp_ieee_inexact 0
		.amdhsa_exception_int_div_zero 0
	.end_amdhsa_kernel
	.section	.text._ZL26rocblas_sger_gfx942_kernelILi256E19rocblas_complex_numIdES1_PKPKS1_PKPS1_EviiT1_lT2_lllSA_lllT3_lll,"axG",@progbits,_ZL26rocblas_sger_gfx942_kernelILi256E19rocblas_complex_numIdES1_PKPKS1_PKPS1_EviiT1_lT2_lllSA_lllT3_lll,comdat
.Lfunc_end57:
	.size	_ZL26rocblas_sger_gfx942_kernelILi256E19rocblas_complex_numIdES1_PKPKS1_PKPS1_EviiT1_lT2_lllSA_lllT3_lll, .Lfunc_end57-_ZL26rocblas_sger_gfx942_kernelILi256E19rocblas_complex_numIdES1_PKPKS1_PKPS1_EviiT1_lT2_lllSA_lllT3_lll
                                        ; -- End function
	.section	.AMDGPU.csdata,"",@progbits
; Kernel info:
; codeLenInByte = 4
; NumSgprs: 0
; NumVgprs: 0
; ScratchSize: 0
; MemoryBound: 0
; FloatMode: 240
; IeeeMode: 1
; LDSByteSize: 0 bytes/workgroup (compile time only)
; SGPRBlocks: 0
; VGPRBlocks: 0
; NumSGPRsForWavesPerEU: 1
; NumVGPRsForWavesPerEU: 1
; Occupancy: 16
; WaveLimiterHint : 0
; COMPUTE_PGM_RSRC2:SCRATCH_EN: 0
; COMPUTE_PGM_RSRC2:USER_SGPR: 15
; COMPUTE_PGM_RSRC2:TRAP_HANDLER: 0
; COMPUTE_PGM_RSRC2:TGID_X_EN: 1
; COMPUTE_PGM_RSRC2:TGID_Y_EN: 0
; COMPUTE_PGM_RSRC2:TGID_Z_EN: 0
; COMPUTE_PGM_RSRC2:TIDIG_COMP_CNT: 0
	.section	.text._ZL19rocblas_sger_kernelILi1024E19rocblas_complex_numIdEPKS1_PKS3_PKPS1_EviiT1_lT2_lllSA_lllT3_lmli,"axG",@progbits,_ZL19rocblas_sger_kernelILi1024E19rocblas_complex_numIdEPKS1_PKS3_PKPS1_EviiT1_lT2_lllSA_lllT3_lmli,comdat
	.globl	_ZL19rocblas_sger_kernelILi1024E19rocblas_complex_numIdEPKS1_PKS3_PKPS1_EviiT1_lT2_lllSA_lllT3_lmli ; -- Begin function _ZL19rocblas_sger_kernelILi1024E19rocblas_complex_numIdEPKS1_PKS3_PKPS1_EviiT1_lT2_lllSA_lllT3_lmli
	.p2align	8
	.type	_ZL19rocblas_sger_kernelILi1024E19rocblas_complex_numIdEPKS1_PKS3_PKPS1_EviiT1_lT2_lllSA_lllT3_lmli,@function
_ZL19rocblas_sger_kernelILi1024E19rocblas_complex_numIdEPKS1_PKS3_PKPS1_EviiT1_lT2_lllSA_lllT3_lmli: ; @_ZL19rocblas_sger_kernelILi1024E19rocblas_complex_numIdEPKS1_PKS3_PKPS1_EviiT1_lT2_lllSA_lllT3_lmli
; %bb.0:
	s_load_b128 s[4:7], s[0:1], 0x8
	s_waitcnt lgkmcnt(0)
	s_mul_i32 s3, s15, s7
	s_mul_hi_u32 s7, s15, s6
	s_mul_i32 s2, s15, s6
	s_add_i32 s3, s7, s3
	s_delay_alu instid0(SALU_CYCLE_1) | instskip(NEXT) | instid1(SALU_CYCLE_1)
	s_lshl_b64 s[2:3], s[2:3], 4
	s_add_u32 s2, s4, s2
	s_addc_u32 s3, s5, s3
	s_load_b128 s[4:7], s[2:3], 0x0
	s_waitcnt lgkmcnt(0)
	v_cmp_neq_f64_e64 s2, s[4:5], 0
	v_cmp_neq_f64_e64 s3, s[6:7], 0
	s_delay_alu instid0(VALU_DEP_1) | instskip(NEXT) | instid1(SALU_CYCLE_1)
	s_or_b32 s2, s2, s3
	s_and_not1_b32 vcc_lo, exec_lo, s2
	s_cbranch_vccnz .LBB58_4
; %bb.1:
	s_mov_b32 s12, s15
	s_load_b32 s15, s[0:1], 0x0
	s_waitcnt lgkmcnt(0)
	v_cmp_gt_i32_e32 vcc_lo, s15, v0
	s_and_saveexec_b32 s2, vcc_lo
	s_cbranch_execz .LBB58_4
; %bb.2:
	s_clause 0x1
	s_load_b64 s[2:3], s[0:1], 0x18
	s_load_b64 s[20:21], s[0:1], 0x38
	s_mov_b32 s13, 0
	s_clause 0x1
	s_load_b128 s[8:11], s[0:1], 0x20
	s_load_b128 s[16:19], s[0:1], 0x40
	s_lshl_b64 s[22:23], s[12:13], 3
	s_waitcnt lgkmcnt(0)
	s_add_u32 s24, s2, s22
	s_addc_u32 s25, s3, s23
	s_add_u32 s2, s20, s22
	s_addc_u32 s3, s21, s23
	s_lshl_b64 s[16:17], s[16:17], 4
	s_load_b64 s[20:21], s[2:3], 0x0
	s_clause 0x1
	s_load_b64 s[26:27], s[0:1], 0x58
	s_load_b128 s[0:3], s[0:1], 0x60
	s_mul_i32 s12, s14, s19
	s_mul_hi_u32 s19, s14, s18
	v_mad_u64_u32 v[5:6], null, s10, v0, 0
	s_delay_alu instid0(VALU_DEP_1)
	v_mad_u64_u32 v[7:8], null, s11, v0, v[6:7]
	v_cndmask_b32_e32 v8, 0, v0, vcc_lo
	s_waitcnt lgkmcnt(0)
	s_add_u32 s28, s20, s16
	s_addc_u32 s29, s21, s17
	s_add_u32 s20, s26, s22
	s_addc_u32 s21, s27, s23
	s_ashr_i32 s22, s14, 31
	s_add_i32 s12, s19, s12
	s_mul_i32 s17, s22, s18
	s_mul_i32 s16, s14, s18
	s_add_i32 s17, s12, s17
	s_mul_hi_u32 s12, s2, s14
	s_lshl_b64 s[16:17], s[16:17], 4
	s_mul_i32 s22, s2, s22
	s_add_u32 s16, s28, s16
	s_addc_u32 s17, s29, s17
	s_mul_i32 s3, s3, s14
	s_load_b128 s[16:19], s[16:17], 0x0
	s_add_i32 s12, s12, s22
	s_mul_i32 s2, s2, s14
	s_add_i32 s3, s12, s3
	v_dual_mov_b32 v6, v7 :: v_dual_lshlrev_b32 v7, 4, v8
	s_lshl_b64 s[2:3], s[2:3], 4
	s_lshl_b64 s[0:1], s[0:1], 4
	s_delay_alu instid0(SALU_CYCLE_1)
	s_add_u32 s0, s2, s0
	s_addc_u32 s1, s3, s1
	v_lshlrev_b64 v[5:6], 4, v[5:6]
	s_waitcnt lgkmcnt(0)
	v_mul_f64 v[1:2], s[6:7], s[18:19]
	v_mul_f64 v[3:4], s[4:5], s[18:19]
	s_load_b64 s[18:19], s[20:21], 0x0
	s_load_b64 s[20:21], s[24:25], 0x0
	s_waitcnt lgkmcnt(0)
	s_add_u32 s2, s18, s0
	s_addc_u32 s3, s19, s1
	s_lshl_b64 s[0:1], s[8:9], 4
	v_add_co_u32 v7, s2, s2, v7
	s_add_u32 s0, s20, s0
	v_add_co_ci_u32_e64 v8, null, s3, 0, s2
	s_addc_u32 s1, s21, s1
	v_add_co_u32 v9, vcc_lo, s0, v5
	v_add_co_ci_u32_e32 v10, vcc_lo, s1, v6, vcc_lo
	v_add_co_u32 v5, vcc_lo, v7, 8
	v_add_co_ci_u32_e32 v6, vcc_lo, 0, v8, vcc_lo
	v_fma_f64 v[1:2], s[4:5], s[16:17], -v[1:2]
	v_fma_f64 v[3:4], s[6:7], s[16:17], v[3:4]
	v_add_co_u32 v7, vcc_lo, v9, 8
	v_add_co_ci_u32_e32 v8, vcc_lo, 0, v10, vcc_lo
	s_lshl_b64 s[2:3], s[10:11], 14
	.p2align	6
.LBB58_3:                               ; =>This Inner Loop Header: Depth=1
	global_load_b128 v[9:12], v[7:8], off offset:-8
	global_load_b128 v[13:16], v[5:6], off offset:-8
	v_add_nc_u32_e32 v0, 0x400, v0
	v_add_co_u32 v7, vcc_lo, v7, s2
	v_add_co_ci_u32_e32 v8, vcc_lo, s3, v8, vcc_lo
	s_delay_alu instid0(VALU_DEP_3) | instskip(SKIP_4) | instid1(VALU_DEP_2)
	v_cmp_le_i32_e32 vcc_lo, s15, v0
	s_or_b32 s13, vcc_lo, s13
	s_waitcnt vmcnt(1)
	v_mul_f64 v[17:18], v[3:4], v[11:12]
	v_mul_f64 v[11:12], v[1:2], v[11:12]
	v_fma_f64 v[17:18], v[1:2], v[9:10], -v[17:18]
	s_delay_alu instid0(VALU_DEP_2) | instskip(SKIP_1) | instid1(VALU_DEP_2)
	v_fma_f64 v[11:12], v[3:4], v[9:10], v[11:12]
	s_waitcnt vmcnt(0)
	v_add_f64 v[9:10], v[13:14], v[17:18]
	s_delay_alu instid0(VALU_DEP_2) | instskip(SKIP_2) | instid1(VALU_DEP_1)
	v_add_f64 v[11:12], v[15:16], v[11:12]
	global_store_b128 v[5:6], v[9:12], off offset:-8
	v_add_co_u32 v5, s0, 0x4000, v5
	v_add_co_ci_u32_e64 v6, s0, 0, v6, s0
	s_and_not1_b32 exec_lo, exec_lo, s13
	s_cbranch_execnz .LBB58_3
.LBB58_4:
	s_nop 0
	s_sendmsg sendmsg(MSG_DEALLOC_VGPRS)
	s_endpgm
	.section	.rodata,"a",@progbits
	.p2align	6, 0x0
	.amdhsa_kernel _ZL19rocblas_sger_kernelILi1024E19rocblas_complex_numIdEPKS1_PKS3_PKPS1_EviiT1_lT2_lllSA_lllT3_lmli
		.amdhsa_group_segment_fixed_size 0
		.amdhsa_private_segment_fixed_size 0
		.amdhsa_kernarg_size 124
		.amdhsa_user_sgpr_count 14
		.amdhsa_user_sgpr_dispatch_ptr 0
		.amdhsa_user_sgpr_queue_ptr 0
		.amdhsa_user_sgpr_kernarg_segment_ptr 1
		.amdhsa_user_sgpr_dispatch_id 0
		.amdhsa_user_sgpr_private_segment_size 0
		.amdhsa_wavefront_size32 1
		.amdhsa_uses_dynamic_stack 0
		.amdhsa_enable_private_segment 0
		.amdhsa_system_sgpr_workgroup_id_x 1
		.amdhsa_system_sgpr_workgroup_id_y 0
		.amdhsa_system_sgpr_workgroup_id_z 1
		.amdhsa_system_sgpr_workgroup_info 0
		.amdhsa_system_vgpr_workitem_id 0
		.amdhsa_next_free_vgpr 19
		.amdhsa_next_free_sgpr 30
		.amdhsa_reserve_vcc 1
		.amdhsa_float_round_mode_32 0
		.amdhsa_float_round_mode_16_64 0
		.amdhsa_float_denorm_mode_32 3
		.amdhsa_float_denorm_mode_16_64 3
		.amdhsa_dx10_clamp 1
		.amdhsa_ieee_mode 1
		.amdhsa_fp16_overflow 0
		.amdhsa_workgroup_processor_mode 1
		.amdhsa_memory_ordered 1
		.amdhsa_forward_progress 0
		.amdhsa_shared_vgpr_count 0
		.amdhsa_exception_fp_ieee_invalid_op 0
		.amdhsa_exception_fp_denorm_src 0
		.amdhsa_exception_fp_ieee_div_zero 0
		.amdhsa_exception_fp_ieee_overflow 0
		.amdhsa_exception_fp_ieee_underflow 0
		.amdhsa_exception_fp_ieee_inexact 0
		.amdhsa_exception_int_div_zero 0
	.end_amdhsa_kernel
	.section	.text._ZL19rocblas_sger_kernelILi1024E19rocblas_complex_numIdEPKS1_PKS3_PKPS1_EviiT1_lT2_lllSA_lllT3_lmli,"axG",@progbits,_ZL19rocblas_sger_kernelILi1024E19rocblas_complex_numIdEPKS1_PKS3_PKPS1_EviiT1_lT2_lllSA_lllT3_lmli,comdat
.Lfunc_end58:
	.size	_ZL19rocblas_sger_kernelILi1024E19rocblas_complex_numIdEPKS1_PKS3_PKPS1_EviiT1_lT2_lllSA_lllT3_lmli, .Lfunc_end58-_ZL19rocblas_sger_kernelILi1024E19rocblas_complex_numIdEPKS1_PKS3_PKPS1_EviiT1_lT2_lllSA_lllT3_lmli
                                        ; -- End function
	.section	.AMDGPU.csdata,"",@progbits
; Kernel info:
; codeLenInByte = 660
; NumSgprs: 32
; NumVgprs: 19
; ScratchSize: 0
; MemoryBound: 0
; FloatMode: 240
; IeeeMode: 1
; LDSByteSize: 0 bytes/workgroup (compile time only)
; SGPRBlocks: 3
; VGPRBlocks: 2
; NumSGPRsForWavesPerEU: 32
; NumVGPRsForWavesPerEU: 19
; Occupancy: 16
; WaveLimiterHint : 1
; COMPUTE_PGM_RSRC2:SCRATCH_EN: 0
; COMPUTE_PGM_RSRC2:USER_SGPR: 14
; COMPUTE_PGM_RSRC2:TRAP_HANDLER: 0
; COMPUTE_PGM_RSRC2:TGID_X_EN: 1
; COMPUTE_PGM_RSRC2:TGID_Y_EN: 0
; COMPUTE_PGM_RSRC2:TGID_Z_EN: 1
; COMPUTE_PGM_RSRC2:TIDIG_COMP_CNT: 0
	.section	.text._ZL19rocblas_sger_kernelILi1024E19rocblas_complex_numIdES1_PKPKS1_PKPS1_EviiT1_lT2_lllSA_lllT3_lmli,"axG",@progbits,_ZL19rocblas_sger_kernelILi1024E19rocblas_complex_numIdES1_PKPKS1_PKPS1_EviiT1_lT2_lllSA_lllT3_lmli,comdat
	.globl	_ZL19rocblas_sger_kernelILi1024E19rocblas_complex_numIdES1_PKPKS1_PKPS1_EviiT1_lT2_lllSA_lllT3_lmli ; -- Begin function _ZL19rocblas_sger_kernelILi1024E19rocblas_complex_numIdES1_PKPKS1_PKPS1_EviiT1_lT2_lllSA_lllT3_lmli
	.p2align	8
	.type	_ZL19rocblas_sger_kernelILi1024E19rocblas_complex_numIdES1_PKPKS1_PKPS1_EviiT1_lT2_lllSA_lllT3_lmli,@function
_ZL19rocblas_sger_kernelILi1024E19rocblas_complex_numIdES1_PKPKS1_PKPS1_EviiT1_lT2_lllSA_lllT3_lmli: ; @_ZL19rocblas_sger_kernelILi1024E19rocblas_complex_numIdES1_PKPKS1_PKPS1_EviiT1_lT2_lllSA_lllT3_lmli
; %bb.0:
	s_load_b128 s[4:7], s[0:1], 0x8
	s_waitcnt lgkmcnt(0)
	v_cmp_neq_f64_e64 s2, s[4:5], 0
	v_cmp_neq_f64_e64 s3, s[6:7], 0
	s_delay_alu instid0(VALU_DEP_1) | instskip(NEXT) | instid1(SALU_CYCLE_1)
	s_or_b32 s2, s2, s3
	s_and_not1_b32 vcc_lo, exec_lo, s2
	s_cbranch_vccnz .LBB59_4
; %bb.1:
	s_mov_b32 s12, s15
	s_load_b32 s15, s[0:1], 0x0
	s_waitcnt lgkmcnt(0)
	v_cmp_gt_i32_e32 vcc_lo, s15, v0
	s_and_saveexec_b32 s2, vcc_lo
	s_cbranch_execz .LBB59_4
; %bb.2:
	s_clause 0x1
	s_load_b64 s[2:3], s[0:1], 0x20
	s_load_b64 s[20:21], s[0:1], 0x40
	s_mov_b32 s13, 0
	s_clause 0x1
	s_load_b128 s[8:11], s[0:1], 0x28
	s_load_b128 s[16:19], s[0:1], 0x48
	s_lshl_b64 s[22:23], s[12:13], 3
	s_waitcnt lgkmcnt(0)
	s_add_u32 s24, s2, s22
	s_addc_u32 s25, s3, s23
	s_add_u32 s2, s20, s22
	s_addc_u32 s3, s21, s23
	s_lshl_b64 s[16:17], s[16:17], 4
	s_load_b64 s[20:21], s[2:3], 0x0
	s_clause 0x1
	s_load_b64 s[26:27], s[0:1], 0x60
	s_load_b128 s[0:3], s[0:1], 0x68
	s_mul_i32 s12, s14, s19
	s_mul_hi_u32 s19, s14, s18
	v_mad_u64_u32 v[5:6], null, s10, v0, 0
	s_delay_alu instid0(VALU_DEP_1)
	v_mad_u64_u32 v[7:8], null, s11, v0, v[6:7]
	v_cndmask_b32_e32 v8, 0, v0, vcc_lo
	s_waitcnt lgkmcnt(0)
	s_add_u32 s28, s20, s16
	s_addc_u32 s29, s21, s17
	s_add_u32 s20, s26, s22
	s_addc_u32 s21, s27, s23
	s_ashr_i32 s22, s14, 31
	s_add_i32 s12, s19, s12
	s_mul_i32 s17, s22, s18
	s_mul_i32 s16, s14, s18
	s_add_i32 s17, s12, s17
	s_mul_hi_u32 s12, s2, s14
	s_lshl_b64 s[16:17], s[16:17], 4
	s_mul_i32 s22, s2, s22
	s_add_u32 s16, s28, s16
	s_addc_u32 s17, s29, s17
	s_mul_i32 s3, s3, s14
	s_load_b128 s[16:19], s[16:17], 0x0
	s_add_i32 s12, s12, s22
	s_mul_i32 s2, s2, s14
	s_add_i32 s3, s12, s3
	v_dual_mov_b32 v6, v7 :: v_dual_lshlrev_b32 v7, 4, v8
	s_lshl_b64 s[2:3], s[2:3], 4
	s_lshl_b64 s[0:1], s[0:1], 4
	s_delay_alu instid0(SALU_CYCLE_1)
	s_add_u32 s0, s2, s0
	s_addc_u32 s1, s3, s1
	v_lshlrev_b64 v[5:6], 4, v[5:6]
	s_waitcnt lgkmcnt(0)
	v_mul_f64 v[1:2], s[6:7], s[18:19]
	v_mul_f64 v[3:4], s[4:5], s[18:19]
	s_load_b64 s[18:19], s[20:21], 0x0
	s_load_b64 s[20:21], s[24:25], 0x0
	s_waitcnt lgkmcnt(0)
	s_add_u32 s2, s18, s0
	s_addc_u32 s3, s19, s1
	s_lshl_b64 s[0:1], s[8:9], 4
	v_add_co_u32 v7, s2, s2, v7
	s_add_u32 s0, s20, s0
	v_add_co_ci_u32_e64 v8, null, s3, 0, s2
	s_addc_u32 s1, s21, s1
	v_add_co_u32 v9, vcc_lo, s0, v5
	v_add_co_ci_u32_e32 v10, vcc_lo, s1, v6, vcc_lo
	v_add_co_u32 v5, vcc_lo, v7, 8
	v_add_co_ci_u32_e32 v6, vcc_lo, 0, v8, vcc_lo
	v_fma_f64 v[1:2], s[4:5], s[16:17], -v[1:2]
	v_fma_f64 v[3:4], s[6:7], s[16:17], v[3:4]
	v_add_co_u32 v7, vcc_lo, v9, 8
	v_add_co_ci_u32_e32 v8, vcc_lo, 0, v10, vcc_lo
	s_lshl_b64 s[2:3], s[10:11], 14
	.p2align	6
.LBB59_3:                               ; =>This Inner Loop Header: Depth=1
	global_load_b128 v[9:12], v[7:8], off offset:-8
	global_load_b128 v[13:16], v[5:6], off offset:-8
	v_add_nc_u32_e32 v0, 0x400, v0
	v_add_co_u32 v7, vcc_lo, v7, s2
	v_add_co_ci_u32_e32 v8, vcc_lo, s3, v8, vcc_lo
	s_delay_alu instid0(VALU_DEP_3) | instskip(SKIP_4) | instid1(VALU_DEP_2)
	v_cmp_le_i32_e32 vcc_lo, s15, v0
	s_or_b32 s13, vcc_lo, s13
	s_waitcnt vmcnt(1)
	v_mul_f64 v[17:18], v[3:4], v[11:12]
	v_mul_f64 v[11:12], v[1:2], v[11:12]
	v_fma_f64 v[17:18], v[1:2], v[9:10], -v[17:18]
	s_delay_alu instid0(VALU_DEP_2) | instskip(SKIP_1) | instid1(VALU_DEP_2)
	v_fma_f64 v[11:12], v[3:4], v[9:10], v[11:12]
	s_waitcnt vmcnt(0)
	v_add_f64 v[9:10], v[13:14], v[17:18]
	s_delay_alu instid0(VALU_DEP_2) | instskip(SKIP_2) | instid1(VALU_DEP_1)
	v_add_f64 v[11:12], v[15:16], v[11:12]
	global_store_b128 v[5:6], v[9:12], off offset:-8
	v_add_co_u32 v5, s0, 0x4000, v5
	v_add_co_ci_u32_e64 v6, s0, 0, v6, s0
	s_and_not1_b32 exec_lo, exec_lo, s13
	s_cbranch_execnz .LBB59_3
.LBB59_4:
	s_nop 0
	s_sendmsg sendmsg(MSG_DEALLOC_VGPRS)
	s_endpgm
	.section	.rodata,"a",@progbits
	.p2align	6, 0x0
	.amdhsa_kernel _ZL19rocblas_sger_kernelILi1024E19rocblas_complex_numIdES1_PKPKS1_PKPS1_EviiT1_lT2_lllSA_lllT3_lmli
		.amdhsa_group_segment_fixed_size 0
		.amdhsa_private_segment_fixed_size 0
		.amdhsa_kernarg_size 132
		.amdhsa_user_sgpr_count 14
		.amdhsa_user_sgpr_dispatch_ptr 0
		.amdhsa_user_sgpr_queue_ptr 0
		.amdhsa_user_sgpr_kernarg_segment_ptr 1
		.amdhsa_user_sgpr_dispatch_id 0
		.amdhsa_user_sgpr_private_segment_size 0
		.amdhsa_wavefront_size32 1
		.amdhsa_uses_dynamic_stack 0
		.amdhsa_enable_private_segment 0
		.amdhsa_system_sgpr_workgroup_id_x 1
		.amdhsa_system_sgpr_workgroup_id_y 0
		.amdhsa_system_sgpr_workgroup_id_z 1
		.amdhsa_system_sgpr_workgroup_info 0
		.amdhsa_system_vgpr_workitem_id 0
		.amdhsa_next_free_vgpr 19
		.amdhsa_next_free_sgpr 30
		.amdhsa_reserve_vcc 1
		.amdhsa_float_round_mode_32 0
		.amdhsa_float_round_mode_16_64 0
		.amdhsa_float_denorm_mode_32 3
		.amdhsa_float_denorm_mode_16_64 3
		.amdhsa_dx10_clamp 1
		.amdhsa_ieee_mode 1
		.amdhsa_fp16_overflow 0
		.amdhsa_workgroup_processor_mode 1
		.amdhsa_memory_ordered 1
		.amdhsa_forward_progress 0
		.amdhsa_shared_vgpr_count 0
		.amdhsa_exception_fp_ieee_invalid_op 0
		.amdhsa_exception_fp_denorm_src 0
		.amdhsa_exception_fp_ieee_div_zero 0
		.amdhsa_exception_fp_ieee_overflow 0
		.amdhsa_exception_fp_ieee_underflow 0
		.amdhsa_exception_fp_ieee_inexact 0
		.amdhsa_exception_int_div_zero 0
	.end_amdhsa_kernel
	.section	.text._ZL19rocblas_sger_kernelILi1024E19rocblas_complex_numIdES1_PKPKS1_PKPS1_EviiT1_lT2_lllSA_lllT3_lmli,"axG",@progbits,_ZL19rocblas_sger_kernelILi1024E19rocblas_complex_numIdES1_PKPKS1_PKPS1_EviiT1_lT2_lllSA_lllT3_lmli,comdat
.Lfunc_end59:
	.size	_ZL19rocblas_sger_kernelILi1024E19rocblas_complex_numIdES1_PKPKS1_PKPS1_EviiT1_lT2_lllSA_lllT3_lmli, .Lfunc_end59-_ZL19rocblas_sger_kernelILi1024E19rocblas_complex_numIdES1_PKPKS1_PKPS1_EviiT1_lT2_lllSA_lllT3_lmli
                                        ; -- End function
	.section	.AMDGPU.csdata,"",@progbits
; Kernel info:
; codeLenInByte = 616
; NumSgprs: 32
; NumVgprs: 19
; ScratchSize: 0
; MemoryBound: 0
; FloatMode: 240
; IeeeMode: 1
; LDSByteSize: 0 bytes/workgroup (compile time only)
; SGPRBlocks: 3
; VGPRBlocks: 2
; NumSGPRsForWavesPerEU: 32
; NumVGPRsForWavesPerEU: 19
; Occupancy: 16
; WaveLimiterHint : 1
; COMPUTE_PGM_RSRC2:SCRATCH_EN: 0
; COMPUTE_PGM_RSRC2:USER_SGPR: 14
; COMPUTE_PGM_RSRC2:TRAP_HANDLER: 0
; COMPUTE_PGM_RSRC2:TGID_X_EN: 1
; COMPUTE_PGM_RSRC2:TGID_Y_EN: 0
; COMPUTE_PGM_RSRC2:TGID_Z_EN: 1
; COMPUTE_PGM_RSRC2:TIDIG_COMP_CNT: 0
	.section	.text._ZL18rocblas_ger_kernelILi32ELi32ELi2ELb0E19rocblas_complex_numIdEPKS1_PKS3_PKPS1_EviiT4_lT5_lllSA_lllT6_lmli,"axG",@progbits,_ZL18rocblas_ger_kernelILi32ELi32ELi2ELb0E19rocblas_complex_numIdEPKS1_PKS3_PKPS1_EviiT4_lT5_lllSA_lllT6_lmli,comdat
	.globl	_ZL18rocblas_ger_kernelILi32ELi32ELi2ELb0E19rocblas_complex_numIdEPKS1_PKS3_PKPS1_EviiT4_lT5_lllSA_lllT6_lmli ; -- Begin function _ZL18rocblas_ger_kernelILi32ELi32ELi2ELb0E19rocblas_complex_numIdEPKS1_PKS3_PKPS1_EviiT4_lT5_lllSA_lllT6_lmli
	.p2align	8
	.type	_ZL18rocblas_ger_kernelILi32ELi32ELi2ELb0E19rocblas_complex_numIdEPKS1_PKS3_PKPS1_EviiT4_lT5_lllSA_lllT6_lmli,@function
_ZL18rocblas_ger_kernelILi32ELi32ELi2ELb0E19rocblas_complex_numIdEPKS1_PKS3_PKPS1_EviiT4_lT5_lllSA_lllT6_lmli: ; @_ZL18rocblas_ger_kernelILi32ELi32ELi2ELb0E19rocblas_complex_numIdEPKS1_PKS3_PKPS1_EviiT4_lT5_lllSA_lllT6_lmli
; %bb.0:
	s_clause 0x1
	s_load_b64 s[8:9], s[0:1], 0x0
	s_load_b128 s[4:7], s[0:1], 0x8
	s_waitcnt lgkmcnt(0)
	s_add_i32 s3, s8, -1
	s_mul_i32 s7, s15, s7
	s_ashr_i32 s10, s3, 31
	s_mul_hi_u32 s11, s15, s6
	s_lshr_b32 s10, s10, 27
	s_mul_i32 s6, s15, s6
	s_add_i32 s3, s3, s10
	s_add_i32 s7, s11, s7
	s_ashr_i32 s3, s3, 5
	s_lshl_b64 s[6:7], s[6:7], 4
	s_add_i32 s10, s3, 1
	s_add_u32 s4, s4, s6
	s_addc_u32 s5, s5, s7
	v_cvt_f32_u32_e32 v1, s10
	s_load_b128 s[4:7], s[4:5], 0x0
	s_delay_alu instid0(VALU_DEP_1) | instskip(SKIP_2) | instid1(VALU_DEP_1)
	v_rcp_iflag_f32_e32 v1, v1
	s_waitcnt_depctr 0xfff
	v_mul_f32_e32 v1, 0x4f7ffffe, v1
	v_cvt_u32_f32_e32 v1, v1
	s_waitcnt lgkmcnt(0)
	v_cmp_neq_f64_e64 s11, s[4:5], 0
	v_cmp_neq_f64_e64 s12, s[6:7], 0
	s_delay_alu instid0(VALU_DEP_1)
	s_or_b32 s12, s11, s12
	v_readfirstlane_b32 s11, v1
	s_and_not1_b32 vcc_lo, exec_lo, s12
	s_cbranch_vccnz .LBB60_14
; %bb.1:
	s_not_b32 s3, s3
	s_clause 0x1
	s_load_b64 s[16:17], s[0:1], 0x38
	s_load_b64 s[18:19], s[0:1], 0x58
	s_mul_i32 s3, s3, s11
	s_mov_b32 s2, s15
	s_mul_hi_u32 s3, s11, s3
	v_and_b32_e32 v5, 0x3ff, v0
	s_add_i32 s11, s11, s3
	v_bfe_u32 v6, v0, 10, 10
	s_mul_hi_u32 s3, s14, s11
	s_delay_alu instid0(SALU_CYCLE_1) | instskip(SKIP_2) | instid1(SALU_CYCLE_1)
	s_mul_i32 s11, s3, s10
	s_add_i32 s12, s3, 1
	s_sub_i32 s11, s14, s11
	s_sub_i32 s13, s11, s10
	s_cmp_ge_u32 s11, s10
	s_cselect_b32 s3, s12, s3
	s_cselect_b32 s11, s13, s11
	s_add_i32 s12, s3, 1
	s_cmp_ge_u32 s11, s10
	s_cselect_b32 s15, s12, s3
	s_mov_b32 s3, 0
	s_mul_i32 s10, s15, s10
	s_lshl_b64 s[12:13], s[2:3], 3
	s_sub_i32 s14, s14, s10
	s_waitcnt lgkmcnt(0)
	s_add_u32 s2, s16, s12
	s_addc_u32 s3, s17, s13
	s_add_u32 s10, s18, s12
	s_addc_u32 s11, s19, s13
	s_load_b64 s[2:3], s[2:3], 0x0
	s_load_b64 s[10:11], s[10:11], 0x0
	v_lshl_add_u32 v4, s14, 5, v5
	s_mov_b32 s14, exec_lo
	v_cmpx_eq_u32_e32 0, v6
	s_cbranch_execz .LBB60_5
; %bb.2:
	v_mov_b32_e32 v0, 0
	v_mov_b32_e32 v1, 0
	s_mov_b32 s16, exec_lo
	s_delay_alu instid0(VALU_DEP_1)
	v_dual_mov_b32 v3, v1 :: v_dual_mov_b32 v2, v0
	v_cmpx_gt_i32_e64 s8, v4
	s_cbranch_execz .LBB60_4
; %bb.3:
	s_clause 0x1
	s_load_b64 s[18:19], s[0:1], 0x18
	s_load_b128 s[20:23], s[0:1], 0x20
	v_ashrrev_i32_e32 v0, 31, v4
	s_waitcnt lgkmcnt(0)
	s_add_u32 s12, s18, s12
	s_addc_u32 s13, s19, s13
	v_mul_lo_u32 v2, v4, s23
	s_load_b64 s[12:13], s[12:13], 0x0
	v_mul_lo_u32 v3, v0, s22
	v_mad_u64_u32 v[0:1], null, v4, s22, 0
	s_lshl_b64 s[18:19], s[20:21], 4
	s_delay_alu instid0(VALU_DEP_1) | instskip(NEXT) | instid1(VALU_DEP_1)
	v_add3_u32 v1, v1, v2, v3
	v_lshlrev_b64 v[0:1], 4, v[0:1]
	s_waitcnt lgkmcnt(0)
	s_add_u32 s12, s12, s18
	s_addc_u32 s13, s13, s19
	s_delay_alu instid0(VALU_DEP_1) | instskip(NEXT) | instid1(VALU_DEP_2)
	v_add_co_u32 v0, vcc_lo, s12, v0
	v_add_co_ci_u32_e32 v1, vcc_lo, s13, v1, vcc_lo
	global_load_b128 v[0:3], v[0:1], off
.LBB60_4:
	s_or_b32 exec_lo, exec_lo, s16
	v_lshlrev_b32_e32 v7, 4, v5
	s_waitcnt vmcnt(0)
	ds_store_b128 v7, v[0:3] offset:1024
.LBB60_5:
	s_or_b32 exec_lo, exec_lo, s14
	v_lshlrev_b32_e32 v7, 1, v6
	s_mov_b32 s12, exec_lo
	s_delay_alu instid0(VALU_DEP_1)
	v_lshl_add_u32 v6, s15, 6, v7
	v_cmpx_gt_u32_e32 2, v5
	s_cbranch_execz .LBB60_9
; %bb.6:
	v_mov_b32_e32 v0, 0
	v_mov_b32_e32 v1, 0
	v_or_b32_e32 v8, v6, v5
	s_mov_b32 s13, exec_lo
	s_delay_alu instid0(VALU_DEP_2) | instskip(NEXT) | instid1(VALU_DEP_2)
	v_dual_mov_b32 v3, v1 :: v_dual_mov_b32 v2, v0
	v_cmpx_gt_u32_e64 s9, v8
	s_cbranch_execz .LBB60_8
; %bb.7:
	s_load_b128 s[16:19], s[0:1], 0x40
	s_waitcnt lgkmcnt(0)
	v_mad_u64_u32 v[0:1], null, v8, s18, 0
	s_lshl_b64 s[14:15], s[16:17], 4
	s_delay_alu instid0(SALU_CYCLE_1) | instskip(SKIP_1) | instid1(VALU_DEP_1)
	s_add_u32 s2, s2, s14
	s_addc_u32 s3, s3, s15
	v_mad_u64_u32 v[2:3], null, v8, s19, v[1:2]
	s_delay_alu instid0(VALU_DEP_1) | instskip(NEXT) | instid1(VALU_DEP_1)
	v_mov_b32_e32 v1, v2
	v_lshlrev_b64 v[0:1], 4, v[0:1]
	s_delay_alu instid0(VALU_DEP_1) | instskip(NEXT) | instid1(VALU_DEP_2)
	v_add_co_u32 v0, vcc_lo, s2, v0
	v_add_co_ci_u32_e32 v1, vcc_lo, s3, v1, vcc_lo
	global_load_b128 v[0:3], v[0:1], off
.LBB60_8:
	s_or_b32 exec_lo, exec_lo, s13
	v_or_b32_e32 v8, v7, v5
	s_delay_alu instid0(VALU_DEP_1)
	v_lshlrev_b32_e32 v8, 4, v8
	s_waitcnt vmcnt(0)
	ds_store_b128 v8, v[0:3]
.LBB60_9:
	s_or_b32 exec_lo, exec_lo, s12
	s_waitcnt lgkmcnt(0)
	s_barrier
	buffer_gl0_inv
	s_mov_b32 s2, exec_lo
	v_cmpx_gt_i32_e64 s8, v4
	s_cbranch_execz .LBB60_14
; %bb.10:
	v_lshlrev_b32_e32 v0, 4, v5
	s_load_b128 s[0:3], s[0:1], 0x60
	v_ashrrev_i32_e32 v5, 31, v4
	ds_load_b128 v[8:11], v0 offset:1024
	s_waitcnt lgkmcnt(0)
	s_lshl_b64 s[0:1], s[0:1], 4
	s_delay_alu instid0(SALU_CYCLE_1) | instskip(SKIP_3) | instid1(VALU_DEP_2)
	s_add_u32 s0, s10, s0
	s_addc_u32 s1, s11, s1
	v_mul_f64 v[0:1], s[6:7], v[10:11]
	v_mul_f64 v[2:3], s[4:5], v[10:11]
	v_fma_f64 v[0:1], s[4:5], v[8:9], -v[0:1]
	s_delay_alu instid0(VALU_DEP_2) | instskip(SKIP_2) | instid1(VALU_DEP_2)
	v_fma_f64 v[2:3], s[6:7], v[8:9], v[2:3]
	v_lshlrev_b64 v[8:9], 4, v[4:5]
	v_lshlrev_b32_e32 v4, 4, v7
	v_add_co_u32 v5, vcc_lo, s0, v8
	s_delay_alu instid0(VALU_DEP_3)
	v_add_co_ci_u32_e32 v8, vcc_lo, s1, v9, vcc_lo
	s_mov_b32 s0, exec_lo
	v_cmpx_gt_i32_e64 s9, v6
	s_cbranch_execz .LBB60_12
; %bb.11:
	v_ashrrev_i32_e32 v7, 31, v6
	v_mul_lo_u32 v11, v6, s3
	v_mad_u64_u32 v[9:10], null, v6, s2, 0
	ds_load_b128 v[13:16], v4
	v_mul_lo_u32 v7, v7, s2
	s_delay_alu instid0(VALU_DEP_1) | instskip(NEXT) | instid1(VALU_DEP_1)
	v_add3_u32 v10, v10, v11, v7
	v_lshlrev_b64 v[9:10], 4, v[9:10]
	s_waitcnt lgkmcnt(0)
	v_mul_f64 v[19:20], v[2:3], v[15:16]
	s_delay_alu instid0(VALU_DEP_2) | instskip(NEXT) | instid1(VALU_DEP_3)
	v_add_co_u32 v17, vcc_lo, v5, v9
	v_add_co_ci_u32_e32 v18, vcc_lo, v8, v10, vcc_lo
	v_mul_f64 v[15:16], v[0:1], v[15:16]
	global_load_b128 v[9:12], v[17:18], off
	v_fma_f64 v[19:20], v[0:1], v[13:14], -v[19:20]
	v_fma_f64 v[13:14], v[2:3], v[13:14], v[15:16]
	s_waitcnt vmcnt(0)
	s_delay_alu instid0(VALU_DEP_2) | instskip(NEXT) | instid1(VALU_DEP_2)
	v_add_f64 v[9:10], v[9:10], v[19:20]
	v_add_f64 v[11:12], v[11:12], v[13:14]
	global_store_b128 v[17:18], v[9:12], off
.LBB60_12:
	s_or_b32 exec_lo, exec_lo, s0
	v_or_b32_e32 v6, 1, v6
	s_delay_alu instid0(VALU_DEP_1)
	v_cmp_gt_i32_e32 vcc_lo, s9, v6
	s_and_b32 exec_lo, exec_lo, vcc_lo
	s_cbranch_execz .LBB60_14
; %bb.13:
	v_ashrrev_i32_e32 v7, 31, v6
	v_mul_lo_u32 v11, v6, s3
	v_mad_u64_u32 v[9:10], null, v6, s2, 0
	s_delay_alu instid0(VALU_DEP_3) | instskip(NEXT) | instid1(VALU_DEP_1)
	v_mul_lo_u32 v6, v7, s2
	v_add3_u32 v10, v10, v11, v6
	s_delay_alu instid0(VALU_DEP_1)
	v_lshlrev_b64 v[6:7], 4, v[9:10]
	ds_load_b128 v[9:12], v4 offset:16
	v_add_co_u32 v13, vcc_lo, v5, v6
	v_add_co_ci_u32_e32 v14, vcc_lo, v8, v7, vcc_lo
	global_load_b128 v[5:8], v[13:14], off
	s_waitcnt lgkmcnt(0)
	v_mul_f64 v[15:16], v[2:3], v[11:12]
	v_mul_f64 v[11:12], v[0:1], v[11:12]
	s_delay_alu instid0(VALU_DEP_2) | instskip(NEXT) | instid1(VALU_DEP_2)
	v_fma_f64 v[0:1], v[0:1], v[9:10], -v[15:16]
	v_fma_f64 v[2:3], v[2:3], v[9:10], v[11:12]
	s_waitcnt vmcnt(0)
	s_delay_alu instid0(VALU_DEP_2) | instskip(NEXT) | instid1(VALU_DEP_2)
	v_add_f64 v[0:1], v[5:6], v[0:1]
	v_add_f64 v[2:3], v[7:8], v[2:3]
	global_store_b128 v[13:14], v[0:3], off
.LBB60_14:
	s_nop 0
	s_sendmsg sendmsg(MSG_DEALLOC_VGPRS)
	s_endpgm
	.section	.rodata,"a",@progbits
	.p2align	6, 0x0
	.amdhsa_kernel _ZL18rocblas_ger_kernelILi32ELi32ELi2ELb0E19rocblas_complex_numIdEPKS1_PKS3_PKPS1_EviiT4_lT5_lllSA_lllT6_lmli
		.amdhsa_group_segment_fixed_size 1536
		.amdhsa_private_segment_fixed_size 0
		.amdhsa_kernarg_size 124
		.amdhsa_user_sgpr_count 14
		.amdhsa_user_sgpr_dispatch_ptr 0
		.amdhsa_user_sgpr_queue_ptr 0
		.amdhsa_user_sgpr_kernarg_segment_ptr 1
		.amdhsa_user_sgpr_dispatch_id 0
		.amdhsa_user_sgpr_private_segment_size 0
		.amdhsa_wavefront_size32 1
		.amdhsa_uses_dynamic_stack 0
		.amdhsa_enable_private_segment 0
		.amdhsa_system_sgpr_workgroup_id_x 1
		.amdhsa_system_sgpr_workgroup_id_y 0
		.amdhsa_system_sgpr_workgroup_id_z 1
		.amdhsa_system_sgpr_workgroup_info 0
		.amdhsa_system_vgpr_workitem_id 1
		.amdhsa_next_free_vgpr 21
		.amdhsa_next_free_sgpr 24
		.amdhsa_reserve_vcc 1
		.amdhsa_float_round_mode_32 0
		.amdhsa_float_round_mode_16_64 0
		.amdhsa_float_denorm_mode_32 3
		.amdhsa_float_denorm_mode_16_64 3
		.amdhsa_dx10_clamp 1
		.amdhsa_ieee_mode 1
		.amdhsa_fp16_overflow 0
		.amdhsa_workgroup_processor_mode 1
		.amdhsa_memory_ordered 1
		.amdhsa_forward_progress 0
		.amdhsa_shared_vgpr_count 0
		.amdhsa_exception_fp_ieee_invalid_op 0
		.amdhsa_exception_fp_denorm_src 0
		.amdhsa_exception_fp_ieee_div_zero 0
		.amdhsa_exception_fp_ieee_overflow 0
		.amdhsa_exception_fp_ieee_underflow 0
		.amdhsa_exception_fp_ieee_inexact 0
		.amdhsa_exception_int_div_zero 0
	.end_amdhsa_kernel
	.section	.text._ZL18rocblas_ger_kernelILi32ELi32ELi2ELb0E19rocblas_complex_numIdEPKS1_PKS3_PKPS1_EviiT4_lT5_lllSA_lllT6_lmli,"axG",@progbits,_ZL18rocblas_ger_kernelILi32ELi32ELi2ELb0E19rocblas_complex_numIdEPKS1_PKS3_PKPS1_EviiT4_lT5_lllSA_lllT6_lmli,comdat
.Lfunc_end60:
	.size	_ZL18rocblas_ger_kernelILi32ELi32ELi2ELb0E19rocblas_complex_numIdEPKS1_PKS3_PKPS1_EviiT4_lT5_lllSA_lllT6_lmli, .Lfunc_end60-_ZL18rocblas_ger_kernelILi32ELi32ELi2ELb0E19rocblas_complex_numIdEPKS1_PKS3_PKPS1_EviiT4_lT5_lllSA_lllT6_lmli
                                        ; -- End function
	.section	.AMDGPU.csdata,"",@progbits
; Kernel info:
; codeLenInByte = 1192
; NumSgprs: 26
; NumVgprs: 21
; ScratchSize: 0
; MemoryBound: 0
; FloatMode: 240
; IeeeMode: 1
; LDSByteSize: 1536 bytes/workgroup (compile time only)
; SGPRBlocks: 3
; VGPRBlocks: 2
; NumSGPRsForWavesPerEU: 26
; NumVGPRsForWavesPerEU: 21
; Occupancy: 16
; WaveLimiterHint : 1
; COMPUTE_PGM_RSRC2:SCRATCH_EN: 0
; COMPUTE_PGM_RSRC2:USER_SGPR: 14
; COMPUTE_PGM_RSRC2:TRAP_HANDLER: 0
; COMPUTE_PGM_RSRC2:TGID_X_EN: 1
; COMPUTE_PGM_RSRC2:TGID_Y_EN: 0
; COMPUTE_PGM_RSRC2:TGID_Z_EN: 1
; COMPUTE_PGM_RSRC2:TIDIG_COMP_CNT: 1
	.section	.text._ZL18rocblas_ger_kernelILi32ELi32ELi2ELb0E19rocblas_complex_numIdES1_PKPKS1_PKPS1_EviiT4_lT5_lllSA_lllT6_lmli,"axG",@progbits,_ZL18rocblas_ger_kernelILi32ELi32ELi2ELb0E19rocblas_complex_numIdES1_PKPKS1_PKPS1_EviiT4_lT5_lllSA_lllT6_lmli,comdat
	.globl	_ZL18rocblas_ger_kernelILi32ELi32ELi2ELb0E19rocblas_complex_numIdES1_PKPKS1_PKPS1_EviiT4_lT5_lllSA_lllT6_lmli ; -- Begin function _ZL18rocblas_ger_kernelILi32ELi32ELi2ELb0E19rocblas_complex_numIdES1_PKPKS1_PKPS1_EviiT4_lT5_lllSA_lllT6_lmli
	.p2align	8
	.type	_ZL18rocblas_ger_kernelILi32ELi32ELi2ELb0E19rocblas_complex_numIdES1_PKPKS1_PKPS1_EviiT4_lT5_lllSA_lllT6_lmli,@function
_ZL18rocblas_ger_kernelILi32ELi32ELi2ELb0E19rocblas_complex_numIdES1_PKPKS1_PKPS1_EviiT4_lT5_lllSA_lllT6_lmli: ; @_ZL18rocblas_ger_kernelILi32ELi32ELi2ELb0E19rocblas_complex_numIdES1_PKPKS1_PKPS1_EviiT4_lT5_lllSA_lllT6_lmli
; %bb.0:
	s_clause 0x1
	s_load_b128 s[4:7], s[0:1], 0x8
	s_load_b64 s[8:9], s[0:1], 0x0
	s_waitcnt lgkmcnt(0)
	v_cmp_neq_f64_e64 s11, s[4:5], 0
	v_cmp_neq_f64_e64 s12, s[6:7], 0
	s_add_i32 s3, s8, -1
	s_delay_alu instid0(SALU_CYCLE_1) | instskip(NEXT) | instid1(SALU_CYCLE_1)
	s_ashr_i32 s10, s3, 31
	s_lshr_b32 s10, s10, 27
	s_delay_alu instid0(SALU_CYCLE_1) | instskip(NEXT) | instid1(SALU_CYCLE_1)
	s_add_i32 s3, s3, s10
	s_ashr_i32 s3, s3, 5
	s_delay_alu instid0(SALU_CYCLE_1) | instskip(NEXT) | instid1(SALU_CYCLE_1)
	s_add_i32 s10, s3, 1
	v_cvt_f32_u32_e32 v1, s10
	s_delay_alu instid0(VALU_DEP_1) | instskip(SKIP_2) | instid1(VALU_DEP_1)
	v_rcp_iflag_f32_e32 v1, v1
	s_waitcnt_depctr 0xfff
	v_mul_f32_e32 v1, 0x4f7ffffe, v1
	v_cvt_u32_f32_e32 v1, v1
	s_or_b32 s12, s11, s12
	s_delay_alu instid0(VALU_DEP_1)
	v_readfirstlane_b32 s11, v1
	s_and_not1_b32 vcc_lo, exec_lo, s12
	s_cbranch_vccnz .LBB61_14
; %bb.1:
	s_not_b32 s3, s3
	s_clause 0x1
	s_load_b64 s[16:17], s[0:1], 0x40
	s_load_b64 s[18:19], s[0:1], 0x60
	s_mul_i32 s3, s3, s11
	s_mov_b32 s2, s15
	s_mul_hi_u32 s3, s11, s3
	v_and_b32_e32 v5, 0x3ff, v0
	s_add_i32 s11, s11, s3
	v_bfe_u32 v6, v0, 10, 10
	s_mul_hi_u32 s3, s14, s11
	s_delay_alu instid0(SALU_CYCLE_1) | instskip(SKIP_2) | instid1(SALU_CYCLE_1)
	s_mul_i32 s11, s3, s10
	s_add_i32 s12, s3, 1
	s_sub_i32 s11, s14, s11
	s_sub_i32 s13, s11, s10
	s_cmp_ge_u32 s11, s10
	s_cselect_b32 s3, s12, s3
	s_cselect_b32 s11, s13, s11
	s_add_i32 s12, s3, 1
	s_cmp_ge_u32 s11, s10
	s_cselect_b32 s15, s12, s3
	s_mov_b32 s3, 0
	s_mul_i32 s10, s15, s10
	s_lshl_b64 s[12:13], s[2:3], 3
	s_sub_i32 s14, s14, s10
	s_waitcnt lgkmcnt(0)
	s_add_u32 s2, s16, s12
	s_addc_u32 s3, s17, s13
	s_add_u32 s10, s18, s12
	s_addc_u32 s11, s19, s13
	s_load_b64 s[2:3], s[2:3], 0x0
	s_load_b64 s[10:11], s[10:11], 0x0
	v_lshl_add_u32 v4, s14, 5, v5
	s_mov_b32 s14, exec_lo
	v_cmpx_eq_u32_e32 0, v6
	s_cbranch_execz .LBB61_5
; %bb.2:
	v_mov_b32_e32 v0, 0
	v_mov_b32_e32 v1, 0
	s_mov_b32 s16, exec_lo
	s_delay_alu instid0(VALU_DEP_1)
	v_dual_mov_b32 v3, v1 :: v_dual_mov_b32 v2, v0
	v_cmpx_gt_i32_e64 s8, v4
	s_cbranch_execz .LBB61_4
; %bb.3:
	s_clause 0x1
	s_load_b64 s[18:19], s[0:1], 0x20
	s_load_b128 s[20:23], s[0:1], 0x28
	v_ashrrev_i32_e32 v0, 31, v4
	s_waitcnt lgkmcnt(0)
	s_add_u32 s12, s18, s12
	s_addc_u32 s13, s19, s13
	v_mul_lo_u32 v2, v4, s23
	s_load_b64 s[12:13], s[12:13], 0x0
	v_mul_lo_u32 v3, v0, s22
	v_mad_u64_u32 v[0:1], null, v4, s22, 0
	s_lshl_b64 s[18:19], s[20:21], 4
	s_delay_alu instid0(VALU_DEP_1) | instskip(NEXT) | instid1(VALU_DEP_1)
	v_add3_u32 v1, v1, v2, v3
	v_lshlrev_b64 v[0:1], 4, v[0:1]
	s_waitcnt lgkmcnt(0)
	s_add_u32 s12, s12, s18
	s_addc_u32 s13, s13, s19
	s_delay_alu instid0(VALU_DEP_1) | instskip(NEXT) | instid1(VALU_DEP_2)
	v_add_co_u32 v0, vcc_lo, s12, v0
	v_add_co_ci_u32_e32 v1, vcc_lo, s13, v1, vcc_lo
	global_load_b128 v[0:3], v[0:1], off
.LBB61_4:
	s_or_b32 exec_lo, exec_lo, s16
	v_lshlrev_b32_e32 v7, 4, v5
	s_waitcnt vmcnt(0)
	ds_store_b128 v7, v[0:3] offset:1024
.LBB61_5:
	s_or_b32 exec_lo, exec_lo, s14
	v_lshlrev_b32_e32 v7, 1, v6
	s_mov_b32 s12, exec_lo
	s_delay_alu instid0(VALU_DEP_1)
	v_lshl_add_u32 v6, s15, 6, v7
	v_cmpx_gt_u32_e32 2, v5
	s_cbranch_execz .LBB61_9
; %bb.6:
	v_mov_b32_e32 v0, 0
	v_mov_b32_e32 v1, 0
	v_or_b32_e32 v8, v6, v5
	s_mov_b32 s13, exec_lo
	s_delay_alu instid0(VALU_DEP_2) | instskip(NEXT) | instid1(VALU_DEP_2)
	v_dual_mov_b32 v3, v1 :: v_dual_mov_b32 v2, v0
	v_cmpx_gt_u32_e64 s9, v8
	s_cbranch_execz .LBB61_8
; %bb.7:
	s_load_b128 s[16:19], s[0:1], 0x48
	s_waitcnt lgkmcnt(0)
	v_mad_u64_u32 v[0:1], null, v8, s18, 0
	s_lshl_b64 s[14:15], s[16:17], 4
	s_delay_alu instid0(SALU_CYCLE_1) | instskip(SKIP_1) | instid1(VALU_DEP_1)
	s_add_u32 s2, s2, s14
	s_addc_u32 s3, s3, s15
	v_mad_u64_u32 v[2:3], null, v8, s19, v[1:2]
	s_delay_alu instid0(VALU_DEP_1) | instskip(NEXT) | instid1(VALU_DEP_1)
	v_mov_b32_e32 v1, v2
	v_lshlrev_b64 v[0:1], 4, v[0:1]
	s_delay_alu instid0(VALU_DEP_1) | instskip(NEXT) | instid1(VALU_DEP_2)
	v_add_co_u32 v0, vcc_lo, s2, v0
	v_add_co_ci_u32_e32 v1, vcc_lo, s3, v1, vcc_lo
	global_load_b128 v[0:3], v[0:1], off
.LBB61_8:
	s_or_b32 exec_lo, exec_lo, s13
	v_or_b32_e32 v8, v7, v5
	s_delay_alu instid0(VALU_DEP_1)
	v_lshlrev_b32_e32 v8, 4, v8
	s_waitcnt vmcnt(0)
	ds_store_b128 v8, v[0:3]
.LBB61_9:
	s_or_b32 exec_lo, exec_lo, s12
	s_waitcnt lgkmcnt(0)
	s_barrier
	buffer_gl0_inv
	s_mov_b32 s2, exec_lo
	v_cmpx_gt_i32_e64 s8, v4
	s_cbranch_execz .LBB61_14
; %bb.10:
	v_lshlrev_b32_e32 v0, 4, v5
	s_load_b128 s[0:3], s[0:1], 0x68
	v_ashrrev_i32_e32 v5, 31, v4
	ds_load_b128 v[8:11], v0 offset:1024
	s_waitcnt lgkmcnt(0)
	s_lshl_b64 s[0:1], s[0:1], 4
	s_delay_alu instid0(SALU_CYCLE_1) | instskip(SKIP_3) | instid1(VALU_DEP_2)
	s_add_u32 s0, s10, s0
	s_addc_u32 s1, s11, s1
	v_mul_f64 v[0:1], s[6:7], v[10:11]
	v_mul_f64 v[2:3], s[4:5], v[10:11]
	v_fma_f64 v[0:1], s[4:5], v[8:9], -v[0:1]
	s_delay_alu instid0(VALU_DEP_2) | instskip(SKIP_2) | instid1(VALU_DEP_2)
	v_fma_f64 v[2:3], s[6:7], v[8:9], v[2:3]
	v_lshlrev_b64 v[8:9], 4, v[4:5]
	v_lshlrev_b32_e32 v4, 4, v7
	v_add_co_u32 v5, vcc_lo, s0, v8
	s_delay_alu instid0(VALU_DEP_3)
	v_add_co_ci_u32_e32 v8, vcc_lo, s1, v9, vcc_lo
	s_mov_b32 s0, exec_lo
	v_cmpx_gt_i32_e64 s9, v6
	s_cbranch_execz .LBB61_12
; %bb.11:
	v_ashrrev_i32_e32 v7, 31, v6
	v_mul_lo_u32 v11, v6, s3
	v_mad_u64_u32 v[9:10], null, v6, s2, 0
	ds_load_b128 v[13:16], v4
	v_mul_lo_u32 v7, v7, s2
	s_delay_alu instid0(VALU_DEP_1) | instskip(NEXT) | instid1(VALU_DEP_1)
	v_add3_u32 v10, v10, v11, v7
	v_lshlrev_b64 v[9:10], 4, v[9:10]
	s_waitcnt lgkmcnt(0)
	v_mul_f64 v[19:20], v[2:3], v[15:16]
	s_delay_alu instid0(VALU_DEP_2) | instskip(NEXT) | instid1(VALU_DEP_3)
	v_add_co_u32 v17, vcc_lo, v5, v9
	v_add_co_ci_u32_e32 v18, vcc_lo, v8, v10, vcc_lo
	v_mul_f64 v[15:16], v[0:1], v[15:16]
	global_load_b128 v[9:12], v[17:18], off
	v_fma_f64 v[19:20], v[0:1], v[13:14], -v[19:20]
	v_fma_f64 v[13:14], v[2:3], v[13:14], v[15:16]
	s_waitcnt vmcnt(0)
	s_delay_alu instid0(VALU_DEP_2) | instskip(NEXT) | instid1(VALU_DEP_2)
	v_add_f64 v[9:10], v[9:10], v[19:20]
	v_add_f64 v[11:12], v[11:12], v[13:14]
	global_store_b128 v[17:18], v[9:12], off
.LBB61_12:
	s_or_b32 exec_lo, exec_lo, s0
	v_or_b32_e32 v6, 1, v6
	s_delay_alu instid0(VALU_DEP_1)
	v_cmp_gt_i32_e32 vcc_lo, s9, v6
	s_and_b32 exec_lo, exec_lo, vcc_lo
	s_cbranch_execz .LBB61_14
; %bb.13:
	v_ashrrev_i32_e32 v7, 31, v6
	v_mul_lo_u32 v11, v6, s3
	v_mad_u64_u32 v[9:10], null, v6, s2, 0
	s_delay_alu instid0(VALU_DEP_3) | instskip(NEXT) | instid1(VALU_DEP_1)
	v_mul_lo_u32 v6, v7, s2
	v_add3_u32 v10, v10, v11, v6
	s_delay_alu instid0(VALU_DEP_1)
	v_lshlrev_b64 v[6:7], 4, v[9:10]
	ds_load_b128 v[9:12], v4 offset:16
	v_add_co_u32 v13, vcc_lo, v5, v6
	v_add_co_ci_u32_e32 v14, vcc_lo, v8, v7, vcc_lo
	global_load_b128 v[5:8], v[13:14], off
	s_waitcnt lgkmcnt(0)
	v_mul_f64 v[15:16], v[2:3], v[11:12]
	v_mul_f64 v[11:12], v[0:1], v[11:12]
	s_delay_alu instid0(VALU_DEP_2) | instskip(NEXT) | instid1(VALU_DEP_2)
	v_fma_f64 v[0:1], v[0:1], v[9:10], -v[15:16]
	v_fma_f64 v[2:3], v[2:3], v[9:10], v[11:12]
	s_waitcnt vmcnt(0)
	s_delay_alu instid0(VALU_DEP_2) | instskip(NEXT) | instid1(VALU_DEP_2)
	v_add_f64 v[0:1], v[5:6], v[0:1]
	v_add_f64 v[2:3], v[7:8], v[2:3]
	global_store_b128 v[13:14], v[0:3], off
.LBB61_14:
	s_nop 0
	s_sendmsg sendmsg(MSG_DEALLOC_VGPRS)
	s_endpgm
	.section	.rodata,"a",@progbits
	.p2align	6, 0x0
	.amdhsa_kernel _ZL18rocblas_ger_kernelILi32ELi32ELi2ELb0E19rocblas_complex_numIdES1_PKPKS1_PKPS1_EviiT4_lT5_lllSA_lllT6_lmli
		.amdhsa_group_segment_fixed_size 1536
		.amdhsa_private_segment_fixed_size 0
		.amdhsa_kernarg_size 132
		.amdhsa_user_sgpr_count 14
		.amdhsa_user_sgpr_dispatch_ptr 0
		.amdhsa_user_sgpr_queue_ptr 0
		.amdhsa_user_sgpr_kernarg_segment_ptr 1
		.amdhsa_user_sgpr_dispatch_id 0
		.amdhsa_user_sgpr_private_segment_size 0
		.amdhsa_wavefront_size32 1
		.amdhsa_uses_dynamic_stack 0
		.amdhsa_enable_private_segment 0
		.amdhsa_system_sgpr_workgroup_id_x 1
		.amdhsa_system_sgpr_workgroup_id_y 0
		.amdhsa_system_sgpr_workgroup_id_z 1
		.amdhsa_system_sgpr_workgroup_info 0
		.amdhsa_system_vgpr_workitem_id 1
		.amdhsa_next_free_vgpr 21
		.amdhsa_next_free_sgpr 24
		.amdhsa_reserve_vcc 1
		.amdhsa_float_round_mode_32 0
		.amdhsa_float_round_mode_16_64 0
		.amdhsa_float_denorm_mode_32 3
		.amdhsa_float_denorm_mode_16_64 3
		.amdhsa_dx10_clamp 1
		.amdhsa_ieee_mode 1
		.amdhsa_fp16_overflow 0
		.amdhsa_workgroup_processor_mode 1
		.amdhsa_memory_ordered 1
		.amdhsa_forward_progress 0
		.amdhsa_shared_vgpr_count 0
		.amdhsa_exception_fp_ieee_invalid_op 0
		.amdhsa_exception_fp_denorm_src 0
		.amdhsa_exception_fp_ieee_div_zero 0
		.amdhsa_exception_fp_ieee_overflow 0
		.amdhsa_exception_fp_ieee_underflow 0
		.amdhsa_exception_fp_ieee_inexact 0
		.amdhsa_exception_int_div_zero 0
	.end_amdhsa_kernel
	.section	.text._ZL18rocblas_ger_kernelILi32ELi32ELi2ELb0E19rocblas_complex_numIdES1_PKPKS1_PKPS1_EviiT4_lT5_lllSA_lllT6_lmli,"axG",@progbits,_ZL18rocblas_ger_kernelILi32ELi32ELi2ELb0E19rocblas_complex_numIdES1_PKPKS1_PKPS1_EviiT4_lT5_lllSA_lllT6_lmli,comdat
.Lfunc_end61:
	.size	_ZL18rocblas_ger_kernelILi32ELi32ELi2ELb0E19rocblas_complex_numIdES1_PKPKS1_PKPS1_EviiT4_lT5_lllSA_lllT6_lmli, .Lfunc_end61-_ZL18rocblas_ger_kernelILi32ELi32ELi2ELb0E19rocblas_complex_numIdES1_PKPKS1_PKPS1_EviiT4_lT5_lllSA_lllT6_lmli
                                        ; -- End function
	.section	.AMDGPU.csdata,"",@progbits
; Kernel info:
; codeLenInByte = 1164
; NumSgprs: 26
; NumVgprs: 21
; ScratchSize: 0
; MemoryBound: 0
; FloatMode: 240
; IeeeMode: 1
; LDSByteSize: 1536 bytes/workgroup (compile time only)
; SGPRBlocks: 3
; VGPRBlocks: 2
; NumSGPRsForWavesPerEU: 26
; NumVGPRsForWavesPerEU: 21
; Occupancy: 16
; WaveLimiterHint : 1
; COMPUTE_PGM_RSRC2:SCRATCH_EN: 0
; COMPUTE_PGM_RSRC2:USER_SGPR: 14
; COMPUTE_PGM_RSRC2:TRAP_HANDLER: 0
; COMPUTE_PGM_RSRC2:TGID_X_EN: 1
; COMPUTE_PGM_RSRC2:TGID_Y_EN: 0
; COMPUTE_PGM_RSRC2:TGID_Z_EN: 1
; COMPUTE_PGM_RSRC2:TIDIG_COMP_CNT: 1
	.section	.text._ZL34rocblas_ger_double_buffered_kernelILb1ELi64ELi16ELi2E19rocblas_complex_numIfE24rocblas_internal_val_ptrIS1_EPKPKS1_PKPS1_EvbiiT4_lT5_lllSC_lllT6_lmli,"axG",@progbits,_ZL34rocblas_ger_double_buffered_kernelILb1ELi64ELi16ELi2E19rocblas_complex_numIfE24rocblas_internal_val_ptrIS1_EPKPKS1_PKPS1_EvbiiT4_lT5_lllSC_lllT6_lmli,comdat
	.globl	_ZL34rocblas_ger_double_buffered_kernelILb1ELi64ELi16ELi2E19rocblas_complex_numIfE24rocblas_internal_val_ptrIS1_EPKPKS1_PKPS1_EvbiiT4_lT5_lllSC_lllT6_lmli ; -- Begin function _ZL34rocblas_ger_double_buffered_kernelILb1ELi64ELi16ELi2E19rocblas_complex_numIfE24rocblas_internal_val_ptrIS1_EPKPKS1_PKPS1_EvbiiT4_lT5_lllSC_lllT6_lmli
	.p2align	8
	.type	_ZL34rocblas_ger_double_buffered_kernelILb1ELi64ELi16ELi2E19rocblas_complex_numIfE24rocblas_internal_val_ptrIS1_EPKPKS1_PKPS1_EvbiiT4_lT5_lllSC_lllT6_lmli,@function
_ZL34rocblas_ger_double_buffered_kernelILb1ELi64ELi16ELi2E19rocblas_complex_numIfE24rocblas_internal_val_ptrIS1_EPKPKS1_PKPS1_EvbiiT4_lT5_lllSC_lllT6_lmli: ; @_ZL34rocblas_ger_double_buffered_kernelILb1ELi64ELi16ELi2E19rocblas_complex_numIfE24rocblas_internal_val_ptrIS1_EPKPKS1_PKPS1_EvbiiT4_lT5_lllSC_lllT6_lmli
; %bb.0:
	s_clause 0x1
	s_load_b32 s2, s[0:1], 0x0
	s_load_b128 s[4:7], s[0:1], 0x10
	s_mov_b32 s8, s15
	s_mov_b32 s9, 0
	s_waitcnt lgkmcnt(0)
	s_bitcmp0_b32 s2, 0
	s_cbranch_scc0 .LBB62_2
; %bb.1:
	s_mul_i32 s2, s8, s7
	s_mul_hi_u32 s3, s8, s6
	s_delay_alu instid0(SALU_CYCLE_1) | instskip(SKIP_1) | instid1(SALU_CYCLE_1)
	s_add_i32 s3, s3, s2
	s_mul_i32 s2, s8, s6
	s_lshl_b64 s[2:3], s[2:3], 3
	s_delay_alu instid0(SALU_CYCLE_1)
	s_add_u32 s2, s4, s2
	s_addc_u32 s3, s5, s3
	s_load_b64 s[2:3], s[2:3], 0x0
	s_and_not1_b32 vcc_lo, exec_lo, s9
	s_cbranch_vccz .LBB62_3
	s_branch .LBB62_4
.LBB62_2:
	s_mov_b32 s9, -1
                                        ; implicit-def: $sgpr2
.LBB62_3:
	s_mov_b32 s9, 0
	s_waitcnt lgkmcnt(0)
	s_mov_b32 s3, s5
	s_mov_b32 s2, s4
.LBB62_4:
	s_waitcnt lgkmcnt(0)
	v_cmp_neq_f32_e64 s4, s2, 0
	v_cmp_neq_f32_e64 s5, s3, 0
	s_delay_alu instid0(VALU_DEP_1) | instskip(NEXT) | instid1(SALU_CYCLE_1)
	s_or_b32 s4, s4, s5
	s_and_not1_b32 vcc_lo, exec_lo, s4
	s_cbranch_vccnz .LBB62_6
; %bb.5:
	s_clause 0x1
	s_load_b64 s[10:11], s[0:1], 0x60
	s_load_b128 s[4:7], s[0:1], 0x68
	s_lshl_b64 s[20:21], s[8:9], 3
	v_and_b32_e32 v1, 0x3ff, v0
	v_bfe_u32 v0, v0, 10, 10
	s_delay_alu instid0(VALU_DEP_2) | instskip(NEXT) | instid1(VALU_DEP_2)
	v_and_b32_e32 v16, 31, v1
	v_lshl_add_u32 v0, v0, 6, v1
	s_delay_alu instid0(VALU_DEP_2) | instskip(NEXT) | instid1(VALU_DEP_2)
	v_or_b32_e32 v14, 32, v16
	v_lshrrev_b32_e32 v0, 4, v0
	s_delay_alu instid0(VALU_DEP_1)
	v_and_b32_e32 v15, 0x1ffe, v0
	s_waitcnt lgkmcnt(0)
	s_add_u32 s8, s10, s20
	s_addc_u32 s9, s11, s21
	s_lshl_b64 s[4:5], s[4:5], 3
	s_load_b64 s[22:23], s[8:9], 0x0
	s_clause 0x3
	s_load_b64 s[24:25], s[0:1], 0x40
	s_load_b128 s[16:19], s[0:1], 0x28
	s_load_b128 s[8:11], s[0:1], 0x48
	s_load_b64 s[0:1], s[0:1], 0x20
	v_or_b32_e32 v17, 1, v0
	v_mad_u64_u32 v[0:1], null, v15, s6, 0
	s_waitcnt lgkmcnt(0)
	s_add_u32 s12, s22, s4
	s_addc_u32 s15, s23, s5
	s_add_u32 s4, s24, s20
	s_addc_u32 s5, s25, s21
	s_lshl_b64 s[8:9], s[8:9], 3
	s_load_b64 s[4:5], s[4:5], 0x0
	v_mad_u64_u32 v[2:3], null, v16, s18, 0
	v_mad_u64_u32 v[4:5], null, v14, s18, 0
	;; [unrolled: 1-line block ×4, first 2 shown]
	s_delay_alu instid0(VALU_DEP_4) | instskip(NEXT) | instid1(VALU_DEP_4)
	v_mad_u64_u32 v[10:11], null, v15, s7, v[1:2]
	v_mad_u64_u32 v[11:12], null, v16, s19, v[3:4]
	s_delay_alu instid0(VALU_DEP_4) | instskip(NEXT) | instid1(VALU_DEP_4)
	v_mad_u64_u32 v[12:13], null, v14, s19, v[5:6]
	v_mad_u64_u32 v[13:14], null, v15, s11, v[7:8]
	s_delay_alu instid0(VALU_DEP_4) | instskip(NEXT) | instid1(VALU_DEP_4)
	v_mad_u64_u32 v[14:15], null, v17, s11, v[9:10]
	v_mov_b32_e32 v3, v11
	s_waitcnt lgkmcnt(0)
	s_add_u32 s8, s4, s8
	s_addc_u32 s9, s5, s9
	s_add_u32 s0, s0, s20
	s_addc_u32 s1, s1, s21
	s_lshl_b64 s[4:5], s[16:17], 3
	s_load_b64 s[0:1], s[0:1], 0x0
	v_mov_b32_e32 v5, v12
	v_lshlrev_b64 v[2:3], 3, v[2:3]
	v_dual_mov_b32 v1, v10 :: v_dual_lshlrev_b32 v10, 3, v16
	s_delay_alu instid0(VALU_DEP_3) | instskip(NEXT) | instid1(VALU_DEP_2)
	v_lshlrev_b64 v[4:5], 3, v[4:5]
	v_lshlrev_b64 v[0:1], 3, v[0:1]
	s_waitcnt lgkmcnt(0)
	s_add_u32 s16, s0, s4
	s_addc_u32 s17, s1, s5
	s_lshl_b32 s0, s13, 6
	s_delay_alu instid0(SALU_CYCLE_1)
	s_ashr_i32 s1, s0, 31
	s_mul_i32 s13, s0, s19
	s_lshl_b64 s[4:5], s[0:1], 3
	s_mul_hi_u32 s19, s0, s18
	s_add_u32 s12, s12, s4
	s_addc_u32 s15, s15, s5
	s_lshl_b32 s14, s14, 6
	s_mul_i32 s1, s1, s18
	s_mul_i32 s4, s14, s7
	s_mul_hi_u32 s5, s14, s6
	s_ashr_i32 s20, s14, 31
	s_add_i32 s5, s5, s4
	s_mul_i32 s21, s20, s6
	s_mul_i32 s4, s14, s6
	s_add_i32 s5, s5, s21
	s_mul_i32 s0, s0, s18
	s_lshl_b64 s[4:5], s[4:5], 3
	s_mul_i32 s20, s20, s10
	s_add_u32 s12, s12, s4
	s_addc_u32 s15, s15, s5
	s_add_i32 s4, s19, s13
	s_mul_i32 s5, s14, s11
	s_add_i32 s1, s4, s1
	s_mul_hi_u32 s4, s14, s10
	s_lshl_b64 s[0:1], s[0:1], 3
	s_delay_alu instid0(SALU_CYCLE_1)
	s_add_u32 s11, s16, s0
	s_addc_u32 s13, s17, s1
	v_add_co_u32 v2, vcc_lo, s11, v2
	v_add_co_ci_u32_e32 v3, vcc_lo, s13, v3, vcc_lo
	v_add_co_u32 v4, vcc_lo, s11, v4
	v_add_co_ci_u32_e32 v5, vcc_lo, s13, v5, vcc_lo
	s_clause 0x1
	global_load_b64 v[2:3], v[2:3], off
	global_load_b64 v[4:5], v[4:5], off
	s_add_i32 s1, s4, s5
	s_mul_i32 s0, s14, s10
	s_add_i32 s1, s1, s20
	s_lshl_b64 s[4:5], s[6:7], 3
	s_lshl_b64 s[0:1], s[0:1], 3
	s_delay_alu instid0(SALU_CYCLE_1) | instskip(SKIP_3) | instid1(VALU_DEP_1)
	s_add_u32 s0, s8, s0
	s_addc_u32 s1, s9, s1
	s_waitcnt vmcnt(1)
	v_mul_f32_e32 v20, s2, v3
	v_dual_fmac_f32 v20, s3, v2 :: v_dual_mov_b32 v7, v13
	v_mov_b32_e32 v9, v14
	s_delay_alu instid0(VALU_DEP_2) | instskip(NEXT) | instid1(VALU_DEP_2)
	v_lshlrev_b64 v[6:7], 3, v[6:7]
	v_lshlrev_b64 v[8:9], 3, v[8:9]
	s_delay_alu instid0(VALU_DEP_2) | instskip(NEXT) | instid1(VALU_DEP_3)
	v_add_co_u32 v6, vcc_lo, s0, v6
	v_add_co_ci_u32_e32 v7, vcc_lo, s1, v7, vcc_lo
	s_delay_alu instid0(VALU_DEP_3) | instskip(NEXT) | instid1(VALU_DEP_4)
	v_add_co_u32 v8, vcc_lo, s0, v8
	v_add_co_ci_u32_e32 v9, vcc_lo, s1, v9, vcc_lo
	s_clause 0x1
	global_load_b64 v[6:7], v[6:7], off
	global_load_b64 v[8:9], v[8:9], off
	v_add_co_u32 v0, vcc_lo, s12, v0
	v_add_co_ci_u32_e32 v1, vcc_lo, s15, v1, vcc_lo
	s_waitcnt vmcnt(2)
	v_mul_f32_e32 v21, s3, v5
	s_delay_alu instid0(VALU_DEP_3) | instskip(NEXT) | instid1(VALU_DEP_3)
	v_add_co_u32 v0, vcc_lo, v0, v10
	v_add_co_ci_u32_e32 v1, vcc_lo, 0, v1, vcc_lo
	v_mul_f32_e32 v5, s2, v5
	s_delay_alu instid0(VALU_DEP_3) | instskip(NEXT) | instid1(VALU_DEP_3)
	v_add_co_u32 v10, vcc_lo, v0, s4
	v_add_co_ci_u32_e32 v11, vcc_lo, s5, v1, vcc_lo
	global_load_b64 v[12:13], v[0:1], off
	s_clause 0x1
	global_load_b64 v[14:15], v[10:11], off
	global_load_b64 v[16:17], v[10:11], off offset:256
	global_load_b64 v[18:19], v[0:1], off offset:256
	s_waitcnt vmcnt(4)
	v_dual_mul_f32 v22, v20, v9 :: v_dual_mul_f32 v3, s3, v3
	s_delay_alu instid0(VALU_DEP_1) | instskip(NEXT) | instid1(VALU_DEP_1)
	v_fma_f32 v2, s2, v2, -v3
	v_fmac_f32_e32 v22, v2, v8
	v_fmac_f32_e32 v5, s3, v4
	s_delay_alu instid0(VALU_DEP_1) | instskip(SKIP_2) | instid1(VALU_DEP_2)
	v_dual_mul_f32 v23, v2, v9 :: v_dual_mul_f32 v24, v5, v7
	v_fma_f32 v3, s2, v4, -v21
	v_mul_f32_e32 v4, v20, v7
	v_fmac_f32_e32 v24, v3, v6
	s_delay_alu instid0(VALU_DEP_2) | instskip(SKIP_2) | instid1(VALU_DEP_2)
	v_fmac_f32_e32 v4, v2, v6
	v_mul_f32_e32 v21, v2, v7
	s_waitcnt vmcnt(3)
	v_dual_mul_f32 v7, v3, v7 :: v_dual_add_f32 v2, v12, v4
	s_waitcnt vmcnt(2)
	v_dual_add_f32 v4, v14, v22 :: v_dual_mul_f32 v25, v5, v9
	v_mul_f32_e32 v9, v3, v9
	v_fma_f32 v21, v20, v6, -v21
	v_fma_f32 v20, v20, v8, -v23
	;; [unrolled: 1-line block ×3, first 2 shown]
	s_waitcnt vmcnt(0)
	v_add_f32_e32 v6, v18, v24
	v_fmac_f32_e32 v25, v3, v8
	v_fma_f32 v9, v5, v8, -v9
	v_add_f32_e32 v3, v13, v21
	v_add_f32_e32 v5, v15, v20
	s_delay_alu instid0(VALU_DEP_4) | instskip(NEXT) | instid1(VALU_DEP_4)
	v_dual_add_f32 v7, v19, v7 :: v_dual_add_f32 v8, v16, v25
	v_add_f32_e32 v9, v17, v9
	global_store_b64 v[0:1], v[2:3], off
	s_clause 0x1
	global_store_b64 v[10:11], v[4:5], off
	global_store_b64 v[0:1], v[6:7], off offset:256
	global_store_b64 v[10:11], v[8:9], off offset:256
.LBB62_6:
	s_nop 0
	s_sendmsg sendmsg(MSG_DEALLOC_VGPRS)
	s_endpgm
	.section	.rodata,"a",@progbits
	.p2align	6, 0x0
	.amdhsa_kernel _ZL34rocblas_ger_double_buffered_kernelILb1ELi64ELi16ELi2E19rocblas_complex_numIfE24rocblas_internal_val_ptrIS1_EPKPKS1_PKPS1_EvbiiT4_lT5_lllSC_lllT6_lmli
		.amdhsa_group_segment_fixed_size 0
		.amdhsa_private_segment_fixed_size 0
		.amdhsa_kernarg_size 132
		.amdhsa_user_sgpr_count 13
		.amdhsa_user_sgpr_dispatch_ptr 0
		.amdhsa_user_sgpr_queue_ptr 0
		.amdhsa_user_sgpr_kernarg_segment_ptr 1
		.amdhsa_user_sgpr_dispatch_id 0
		.amdhsa_user_sgpr_private_segment_size 0
		.amdhsa_wavefront_size32 1
		.amdhsa_uses_dynamic_stack 0
		.amdhsa_enable_private_segment 0
		.amdhsa_system_sgpr_workgroup_id_x 1
		.amdhsa_system_sgpr_workgroup_id_y 1
		.amdhsa_system_sgpr_workgroup_id_z 1
		.amdhsa_system_sgpr_workgroup_info 0
		.amdhsa_system_vgpr_workitem_id 1
		.amdhsa_next_free_vgpr 26
		.amdhsa_next_free_sgpr 26
		.amdhsa_reserve_vcc 1
		.amdhsa_float_round_mode_32 0
		.amdhsa_float_round_mode_16_64 0
		.amdhsa_float_denorm_mode_32 3
		.amdhsa_float_denorm_mode_16_64 3
		.amdhsa_dx10_clamp 1
		.amdhsa_ieee_mode 1
		.amdhsa_fp16_overflow 0
		.amdhsa_workgroup_processor_mode 1
		.amdhsa_memory_ordered 1
		.amdhsa_forward_progress 0
		.amdhsa_shared_vgpr_count 0
		.amdhsa_exception_fp_ieee_invalid_op 0
		.amdhsa_exception_fp_denorm_src 0
		.amdhsa_exception_fp_ieee_div_zero 0
		.amdhsa_exception_fp_ieee_overflow 0
		.amdhsa_exception_fp_ieee_underflow 0
		.amdhsa_exception_fp_ieee_inexact 0
		.amdhsa_exception_int_div_zero 0
	.end_amdhsa_kernel
	.section	.text._ZL34rocblas_ger_double_buffered_kernelILb1ELi64ELi16ELi2E19rocblas_complex_numIfE24rocblas_internal_val_ptrIS1_EPKPKS1_PKPS1_EvbiiT4_lT5_lllSC_lllT6_lmli,"axG",@progbits,_ZL34rocblas_ger_double_buffered_kernelILb1ELi64ELi16ELi2E19rocblas_complex_numIfE24rocblas_internal_val_ptrIS1_EPKPKS1_PKPS1_EvbiiT4_lT5_lllSC_lllT6_lmli,comdat
.Lfunc_end62:
	.size	_ZL34rocblas_ger_double_buffered_kernelILb1ELi64ELi16ELi2E19rocblas_complex_numIfE24rocblas_internal_val_ptrIS1_EPKPKS1_PKPS1_EvbiiT4_lT5_lllSC_lllT6_lmli, .Lfunc_end62-_ZL34rocblas_ger_double_buffered_kernelILb1ELi64ELi16ELi2E19rocblas_complex_numIfE24rocblas_internal_val_ptrIS1_EPKPKS1_PKPS1_EvbiiT4_lT5_lllSC_lllT6_lmli
                                        ; -- End function
	.section	.AMDGPU.csdata,"",@progbits
; Kernel info:
; codeLenInByte = 1104
; NumSgprs: 28
; NumVgprs: 26
; ScratchSize: 0
; MemoryBound: 0
; FloatMode: 240
; IeeeMode: 1
; LDSByteSize: 0 bytes/workgroup (compile time only)
; SGPRBlocks: 3
; VGPRBlocks: 3
; NumSGPRsForWavesPerEU: 28
; NumVGPRsForWavesPerEU: 26
; Occupancy: 16
; WaveLimiterHint : 1
; COMPUTE_PGM_RSRC2:SCRATCH_EN: 0
; COMPUTE_PGM_RSRC2:USER_SGPR: 13
; COMPUTE_PGM_RSRC2:TRAP_HANDLER: 0
; COMPUTE_PGM_RSRC2:TGID_X_EN: 1
; COMPUTE_PGM_RSRC2:TGID_Y_EN: 1
; COMPUTE_PGM_RSRC2:TGID_Z_EN: 1
; COMPUTE_PGM_RSRC2:TIDIG_COMP_CNT: 1
	.section	.text._ZL18rocblas_ger_kernelILi32ELi32ELi2ELb1E19rocblas_complex_numIfEPKS1_PKS3_PKPS1_EviiT4_lT5_lllSA_lllT6_lmli,"axG",@progbits,_ZL18rocblas_ger_kernelILi32ELi32ELi2ELb1E19rocblas_complex_numIfEPKS1_PKS3_PKPS1_EviiT4_lT5_lllSA_lllT6_lmli,comdat
	.globl	_ZL18rocblas_ger_kernelILi32ELi32ELi2ELb1E19rocblas_complex_numIfEPKS1_PKS3_PKPS1_EviiT4_lT5_lllSA_lllT6_lmli ; -- Begin function _ZL18rocblas_ger_kernelILi32ELi32ELi2ELb1E19rocblas_complex_numIfEPKS1_PKS3_PKPS1_EviiT4_lT5_lllSA_lllT6_lmli
	.p2align	8
	.type	_ZL18rocblas_ger_kernelILi32ELi32ELi2ELb1E19rocblas_complex_numIfEPKS1_PKS3_PKPS1_EviiT4_lT5_lllSA_lllT6_lmli,@function
_ZL18rocblas_ger_kernelILi32ELi32ELi2ELb1E19rocblas_complex_numIfEPKS1_PKS3_PKPS1_EviiT4_lT5_lllSA_lllT6_lmli: ; @_ZL18rocblas_ger_kernelILi32ELi32ELi2ELb1E19rocblas_complex_numIfEPKS1_PKS3_PKPS1_EviiT4_lT5_lllSA_lllT6_lmli
; %bb.0:
	s_clause 0x1
	s_load_b64 s[4:5], s[0:1], 0x0
	s_load_b128 s[16:19], s[0:1], 0x8
	s_waitcnt lgkmcnt(0)
	s_add_i32 s3, s4, -1
	s_mul_i32 s7, s15, s19
	s_ashr_i32 s6, s3, 31
	s_mul_hi_u32 s8, s15, s18
	s_lshr_b32 s6, s6, 27
	s_add_i32 s7, s8, s7
	s_add_i32 s3, s3, s6
	s_mul_i32 s6, s15, s18
	s_ashr_i32 s9, s3, 5
	s_lshl_b64 s[6:7], s[6:7], 3
	s_add_i32 s8, s9, 1
	s_add_u32 s6, s16, s6
	v_cvt_f32_u32_e32 v1, s8
	s_addc_u32 s7, s17, s7
	s_load_b64 s[6:7], s[6:7], 0x0
	s_delay_alu instid0(VALU_DEP_1) | instskip(SKIP_2) | instid1(VALU_DEP_1)
	v_rcp_iflag_f32_e32 v1, v1
	s_waitcnt_depctr 0xfff
	v_mul_f32_e32 v1, 0x4f7ffffe, v1
	v_cvt_u32_f32_e32 v1, v1
	s_waitcnt lgkmcnt(0)
	s_or_b32 s3, s6, s7
	s_delay_alu instid0(SALU_CYCLE_1) | instskip(NEXT) | instid1(VALU_DEP_1)
	s_bitset0_b32 s3, 31
	v_readfirstlane_b32 s10, v1
	s_cmp_eq_u32 s3, 0
	s_mov_b32 s3, 0
	s_cbranch_scc1 .LBB63_14
; %bb.1:
	s_not_b32 s9, s9
	s_clause 0x1
	s_load_b64 s[16:17], s[0:1], 0x38
	s_load_b64 s[18:19], s[0:1], 0x58
	s_mul_i32 s9, s9, s10
	s_mov_b32 s2, s15
	s_mul_hi_u32 s9, s10, s9
	v_and_b32_e32 v3, 0x3ff, v0
	s_add_i32 s10, s10, s9
	v_bfe_u32 v4, v0, 10, 10
	s_mul_hi_u32 s9, s14, s10
	s_delay_alu instid0(SALU_CYCLE_1) | instskip(SKIP_2) | instid1(SALU_CYCLE_1)
	s_mul_i32 s10, s9, s8
	s_add_i32 s11, s9, 1
	s_sub_i32 s10, s14, s10
	s_sub_i32 s12, s10, s8
	s_cmp_ge_u32 s10, s8
	s_cselect_b32 s9, s11, s9
	s_cselect_b32 s10, s12, s10
	s_add_i32 s11, s9, 1
	s_cmp_ge_u32 s10, s8
	s_cselect_b32 s12, s11, s9
	s_lshl_b64 s[10:11], s[2:3], 3
	s_mul_i32 s8, s12, s8
	s_delay_alu instid0(SALU_CYCLE_1)
	s_sub_i32 s13, s14, s8
	s_waitcnt lgkmcnt(0)
	s_add_u32 s2, s16, s10
	s_addc_u32 s3, s17, s11
	s_add_u32 s8, s18, s10
	s_addc_u32 s9, s19, s11
	s_load_b64 s[2:3], s[2:3], 0x0
	s_load_b64 s[8:9], s[8:9], 0x0
	v_lshl_add_u32 v0, s13, 5, v3
	s_mov_b32 s13, exec_lo
	v_cmpx_eq_u32_e32 0, v4
	s_cbranch_execz .LBB63_5
; %bb.2:
	v_dual_mov_b32 v1, 0 :: v_dual_mov_b32 v2, 0
	s_mov_b32 s14, exec_lo
	v_cmpx_gt_i32_e64 s4, v0
	s_cbranch_execz .LBB63_4
; %bb.3:
	s_clause 0x1
	s_load_b64 s[20:21], s[0:1], 0x18
	s_load_b128 s[16:19], s[0:1], 0x20
	v_ashrrev_i32_e32 v1, 31, v0
	s_waitcnt lgkmcnt(0)
	s_add_u32 s10, s20, s10
	s_addc_u32 s11, s21, s11
	v_mul_lo_u32 v5, v0, s19
	s_load_b64 s[10:11], s[10:11], 0x0
	v_mul_lo_u32 v6, v1, s18
	v_mad_u64_u32 v[1:2], null, v0, s18, 0
	s_lshl_b64 s[16:17], s[16:17], 3
	s_delay_alu instid0(VALU_DEP_1) | instskip(NEXT) | instid1(VALU_DEP_1)
	v_add3_u32 v2, v2, v5, v6
	v_lshlrev_b64 v[1:2], 3, v[1:2]
	s_waitcnt lgkmcnt(0)
	s_add_u32 s10, s10, s16
	s_addc_u32 s11, s11, s17
	s_delay_alu instid0(VALU_DEP_1) | instskip(NEXT) | instid1(VALU_DEP_2)
	v_add_co_u32 v1, vcc_lo, s10, v1
	v_add_co_ci_u32_e32 v2, vcc_lo, s11, v2, vcc_lo
	global_load_b64 v[1:2], v[1:2], off
.LBB63_4:
	s_or_b32 exec_lo, exec_lo, s14
	v_lshlrev_b32_e32 v5, 3, v3
	s_waitcnt vmcnt(0)
	ds_store_b64 v5, v[1:2] offset:512
.LBB63_5:
	s_or_b32 exec_lo, exec_lo, s13
	v_lshlrev_b32_e32 v5, 1, v4
	s_mov_b32 s10, exec_lo
	s_delay_alu instid0(VALU_DEP_1)
	v_lshl_add_u32 v4, s12, 6, v5
	v_cmpx_gt_u32_e32 2, v3
	s_cbranch_execz .LBB63_9
; %bb.6:
	s_delay_alu instid0(VALU_DEP_2) | instskip(SKIP_2) | instid1(VALU_DEP_2)
	v_or_b32_e32 v6, v4, v3
	v_dual_mov_b32 v1, 0 :: v_dual_mov_b32 v2, 0
	s_mov_b32 s11, exec_lo
	v_cmpx_gt_u32_e64 s5, v6
	s_cbranch_execz .LBB63_8
; %bb.7:
	s_load_b128 s[12:15], s[0:1], 0x40
	s_waitcnt lgkmcnt(0)
	v_mad_u64_u32 v[1:2], null, v6, s14, 0
	s_lshl_b64 s[12:13], s[12:13], 3
	s_delay_alu instid0(SALU_CYCLE_1) | instskip(SKIP_1) | instid1(VALU_DEP_1)
	s_add_u32 s2, s2, s12
	s_addc_u32 s3, s3, s13
	v_mad_u64_u32 v[7:8], null, v6, s15, v[2:3]
	s_delay_alu instid0(VALU_DEP_1) | instskip(NEXT) | instid1(VALU_DEP_1)
	v_mov_b32_e32 v2, v7
	v_lshlrev_b64 v[1:2], 3, v[1:2]
	s_delay_alu instid0(VALU_DEP_1) | instskip(NEXT) | instid1(VALU_DEP_2)
	v_add_co_u32 v1, vcc_lo, s2, v1
	v_add_co_ci_u32_e32 v2, vcc_lo, s3, v2, vcc_lo
	global_load_b64 v[1:2], v[1:2], off
.LBB63_8:
	s_or_b32 exec_lo, exec_lo, s11
	v_or_b32_e32 v6, v5, v3
	s_delay_alu instid0(VALU_DEP_1)
	v_lshlrev_b32_e32 v6, 3, v6
	s_waitcnt vmcnt(0)
	ds_store_b64 v6, v[1:2]
.LBB63_9:
	s_or_b32 exec_lo, exec_lo, s10
	s_waitcnt lgkmcnt(0)
	s_barrier
	buffer_gl0_inv
	s_mov_b32 s2, exec_lo
	v_cmpx_gt_i32_e64 s4, v0
	s_cbranch_execz .LBB63_14
; %bb.10:
	v_lshlrev_b32_e32 v1, 3, v3
	s_load_b128 s[0:3], s[0:1], 0x60
	ds_load_b64 v[2:3], v1 offset:512
	v_ashrrev_i32_e32 v1, 31, v0
	s_delay_alu instid0(VALU_DEP_1) | instskip(SKIP_2) | instid1(SALU_CYCLE_1)
	v_lshlrev_b64 v[6:7], 3, v[0:1]
	s_waitcnt lgkmcnt(0)
	s_lshl_b64 s[0:1], s[0:1], 3
	s_add_u32 s0, s8, s0
	s_addc_u32 s1, s9, s1
	v_mul_f32_e32 v1, s7, v3
	v_mul_f32_e32 v0, s6, v3
	v_add_co_u32 v3, s0, s0, v6
	s_delay_alu instid0(VALU_DEP_1) | instskip(NEXT) | instid1(VALU_DEP_4)
	v_add_co_ci_u32_e64 v6, s0, s1, v7, s0
	v_fma_f32 v1, v2, s6, -v1
	s_delay_alu instid0(VALU_DEP_4)
	v_fmac_f32_e32 v0, s7, v2
	v_lshlrev_b32_e32 v2, 3, v5
	s_mov_b32 s0, exec_lo
	v_cmpx_gt_i32_e64 s5, v4
	s_cbranch_execz .LBB63_12
; %bb.11:
	v_ashrrev_i32_e32 v5, 31, v4
	v_mul_lo_u32 v9, v4, s3
	v_mad_u64_u32 v[7:8], null, v4, s2, 0
	ds_load_b64 v[11:12], v2
	v_mul_lo_u32 v5, v5, s2
	s_delay_alu instid0(VALU_DEP_1) | instskip(NEXT) | instid1(VALU_DEP_1)
	v_add3_u32 v8, v8, v9, v5
	v_lshlrev_b64 v[7:8], 3, v[7:8]
	s_delay_alu instid0(VALU_DEP_1) | instskip(NEXT) | instid1(VALU_DEP_2)
	v_add_co_u32 v7, vcc_lo, v3, v7
	v_add_co_ci_u32_e32 v8, vcc_lo, v6, v8, vcc_lo
	global_load_b64 v[9:10], v[7:8], off
	s_waitcnt lgkmcnt(0)
	v_mul_f32_e32 v5, v0, v12
	v_mul_f32_e32 v12, v1, v12
	s_delay_alu instid0(VALU_DEP_2) | instskip(NEXT) | instid1(VALU_DEP_2)
	v_fmac_f32_e32 v5, v1, v11
	v_fma_f32 v11, v0, v11, -v12
	s_waitcnt vmcnt(0)
	s_delay_alu instid0(VALU_DEP_1)
	v_dual_add_f32 v10, v10, v11 :: v_dual_add_f32 v9, v9, v5
	global_store_b64 v[7:8], v[9:10], off
.LBB63_12:
	s_or_b32 exec_lo, exec_lo, s0
	v_or_b32_e32 v4, 1, v4
	s_delay_alu instid0(VALU_DEP_1)
	v_cmp_gt_i32_e32 vcc_lo, s5, v4
	s_and_b32 exec_lo, exec_lo, vcc_lo
	s_cbranch_execz .LBB63_14
; %bb.13:
	v_ashrrev_i32_e32 v5, 31, v4
	v_mul_lo_u32 v9, v4, s3
	v_mad_u64_u32 v[7:8], null, v4, s2, 0
	s_delay_alu instid0(VALU_DEP_3) | instskip(NEXT) | instid1(VALU_DEP_1)
	v_mul_lo_u32 v4, v5, s2
	v_add3_u32 v8, v8, v9, v4
	s_delay_alu instid0(VALU_DEP_1)
	v_lshlrev_b64 v[4:5], 3, v[7:8]
	ds_load_b64 v[7:8], v2 offset:8
	v_add_co_u32 v3, vcc_lo, v3, v4
	v_add_co_ci_u32_e32 v4, vcc_lo, v6, v5, vcc_lo
	global_load_b64 v[5:6], v[3:4], off
	s_waitcnt lgkmcnt(0)
	v_mul_f32_e32 v2, v0, v8
	v_mul_f32_e32 v8, v1, v8
	s_delay_alu instid0(VALU_DEP_2) | instskip(NEXT) | instid1(VALU_DEP_2)
	v_fmac_f32_e32 v2, v1, v7
	v_fma_f32 v1, v0, v7, -v8
	s_waitcnt vmcnt(0)
	s_delay_alu instid0(VALU_DEP_1)
	v_dual_add_f32 v1, v6, v1 :: v_dual_add_f32 v0, v5, v2
	global_store_b64 v[3:4], v[0:1], off
.LBB63_14:
	s_nop 0
	s_sendmsg sendmsg(MSG_DEALLOC_VGPRS)
	s_endpgm
	.section	.rodata,"a",@progbits
	.p2align	6, 0x0
	.amdhsa_kernel _ZL18rocblas_ger_kernelILi32ELi32ELi2ELb1E19rocblas_complex_numIfEPKS1_PKS3_PKPS1_EviiT4_lT5_lllSA_lllT6_lmli
		.amdhsa_group_segment_fixed_size 768
		.amdhsa_private_segment_fixed_size 0
		.amdhsa_kernarg_size 124
		.amdhsa_user_sgpr_count 14
		.amdhsa_user_sgpr_dispatch_ptr 0
		.amdhsa_user_sgpr_queue_ptr 0
		.amdhsa_user_sgpr_kernarg_segment_ptr 1
		.amdhsa_user_sgpr_dispatch_id 0
		.amdhsa_user_sgpr_private_segment_size 0
		.amdhsa_wavefront_size32 1
		.amdhsa_uses_dynamic_stack 0
		.amdhsa_enable_private_segment 0
		.amdhsa_system_sgpr_workgroup_id_x 1
		.amdhsa_system_sgpr_workgroup_id_y 0
		.amdhsa_system_sgpr_workgroup_id_z 1
		.amdhsa_system_sgpr_workgroup_info 0
		.amdhsa_system_vgpr_workitem_id 1
		.amdhsa_next_free_vgpr 13
		.amdhsa_next_free_sgpr 22
		.amdhsa_reserve_vcc 1
		.amdhsa_float_round_mode_32 0
		.amdhsa_float_round_mode_16_64 0
		.amdhsa_float_denorm_mode_32 3
		.amdhsa_float_denorm_mode_16_64 3
		.amdhsa_dx10_clamp 1
		.amdhsa_ieee_mode 1
		.amdhsa_fp16_overflow 0
		.amdhsa_workgroup_processor_mode 1
		.amdhsa_memory_ordered 1
		.amdhsa_forward_progress 0
		.amdhsa_shared_vgpr_count 0
		.amdhsa_exception_fp_ieee_invalid_op 0
		.amdhsa_exception_fp_denorm_src 0
		.amdhsa_exception_fp_ieee_div_zero 0
		.amdhsa_exception_fp_ieee_overflow 0
		.amdhsa_exception_fp_ieee_underflow 0
		.amdhsa_exception_fp_ieee_inexact 0
		.amdhsa_exception_int_div_zero 0
	.end_amdhsa_kernel
	.section	.text._ZL18rocblas_ger_kernelILi32ELi32ELi2ELb1E19rocblas_complex_numIfEPKS1_PKS3_PKPS1_EviiT4_lT5_lllSA_lllT6_lmli,"axG",@progbits,_ZL18rocblas_ger_kernelILi32ELi32ELi2ELb1E19rocblas_complex_numIfEPKS1_PKS3_PKPS1_EviiT4_lT5_lllSA_lllT6_lmli,comdat
.Lfunc_end63:
	.size	_ZL18rocblas_ger_kernelILi32ELi32ELi2ELb1E19rocblas_complex_numIfEPKS1_PKS3_PKPS1_EviiT4_lT5_lllSA_lllT6_lmli, .Lfunc_end63-_ZL18rocblas_ger_kernelILi32ELi32ELi2ELb1E19rocblas_complex_numIfEPKS1_PKS3_PKPS1_EviiT4_lT5_lllSA_lllT6_lmli
                                        ; -- End function
	.section	.AMDGPU.csdata,"",@progbits
; Kernel info:
; codeLenInByte = 1120
; NumSgprs: 24
; NumVgprs: 13
; ScratchSize: 0
; MemoryBound: 0
; FloatMode: 240
; IeeeMode: 1
; LDSByteSize: 768 bytes/workgroup (compile time only)
; SGPRBlocks: 2
; VGPRBlocks: 1
; NumSGPRsForWavesPerEU: 24
; NumVGPRsForWavesPerEU: 13
; Occupancy: 16
; WaveLimiterHint : 1
; COMPUTE_PGM_RSRC2:SCRATCH_EN: 0
; COMPUTE_PGM_RSRC2:USER_SGPR: 14
; COMPUTE_PGM_RSRC2:TRAP_HANDLER: 0
; COMPUTE_PGM_RSRC2:TGID_X_EN: 1
; COMPUTE_PGM_RSRC2:TGID_Y_EN: 0
; COMPUTE_PGM_RSRC2:TGID_Z_EN: 1
; COMPUTE_PGM_RSRC2:TIDIG_COMP_CNT: 1
	.section	.text._ZL18rocblas_ger_kernelILi32ELi32ELi2ELb1E19rocblas_complex_numIfES1_PKPKS1_PKPS1_EviiT4_lT5_lllSA_lllT6_lmli,"axG",@progbits,_ZL18rocblas_ger_kernelILi32ELi32ELi2ELb1E19rocblas_complex_numIfES1_PKPKS1_PKPS1_EviiT4_lT5_lllSA_lllT6_lmli,comdat
	.globl	_ZL18rocblas_ger_kernelILi32ELi32ELi2ELb1E19rocblas_complex_numIfES1_PKPKS1_PKPS1_EviiT4_lT5_lllSA_lllT6_lmli ; -- Begin function _ZL18rocblas_ger_kernelILi32ELi32ELi2ELb1E19rocblas_complex_numIfES1_PKPKS1_PKPS1_EviiT4_lT5_lllSA_lllT6_lmli
	.p2align	8
	.type	_ZL18rocblas_ger_kernelILi32ELi32ELi2ELb1E19rocblas_complex_numIfES1_PKPKS1_PKPS1_EviiT4_lT5_lllSA_lllT6_lmli,@function
_ZL18rocblas_ger_kernelILi32ELi32ELi2ELb1E19rocblas_complex_numIfES1_PKPKS1_PKPS1_EviiT4_lT5_lllSA_lllT6_lmli: ; @_ZL18rocblas_ger_kernelILi32ELi32ELi2ELb1E19rocblas_complex_numIfES1_PKPKS1_PKPS1_EviiT4_lT5_lllSA_lllT6_lmli
; %bb.0:
	s_load_b128 s[4:7], s[0:1], 0x0
	s_waitcnt lgkmcnt(0)
	s_add_i32 s3, s4, -1
	s_delay_alu instid0(SALU_CYCLE_1) | instskip(NEXT) | instid1(SALU_CYCLE_1)
	s_ashr_i32 s8, s3, 31
	s_lshr_b32 s8, s8, 27
	s_delay_alu instid0(SALU_CYCLE_1) | instskip(NEXT) | instid1(SALU_CYCLE_1)
	s_add_i32 s3, s3, s8
	s_ashr_i32 s9, s3, 5
	s_or_b32 s3, s6, s7
	s_add_i32 s8, s9, 1
	s_bitset0_b32 s3, 31
	v_cvt_f32_u32_e32 v1, s8
	s_cmp_eq_u32 s3, 0
	s_mov_b32 s3, 0
	s_delay_alu instid0(VALU_DEP_1) | instskip(SKIP_2) | instid1(VALU_DEP_1)
	v_rcp_iflag_f32_e32 v1, v1
	s_waitcnt_depctr 0xfff
	v_mul_f32_e32 v1, 0x4f7ffffe, v1
	v_cvt_u32_f32_e32 v1, v1
	s_delay_alu instid0(VALU_DEP_1)
	v_readfirstlane_b32 s10, v1
	s_cbranch_scc1 .LBB64_14
; %bb.1:
	s_not_b32 s9, s9
	s_clause 0x1
	s_load_b64 s[16:17], s[0:1], 0x38
	s_load_b64 s[18:19], s[0:1], 0x58
	s_mul_i32 s9, s9, s10
	s_mov_b32 s2, s15
	s_mul_hi_u32 s9, s10, s9
	v_and_b32_e32 v3, 0x3ff, v0
	s_add_i32 s10, s10, s9
	v_bfe_u32 v4, v0, 10, 10
	s_mul_hi_u32 s9, s14, s10
	s_delay_alu instid0(SALU_CYCLE_1) | instskip(SKIP_2) | instid1(SALU_CYCLE_1)
	s_mul_i32 s10, s9, s8
	s_add_i32 s11, s9, 1
	s_sub_i32 s10, s14, s10
	s_sub_i32 s12, s10, s8
	s_cmp_ge_u32 s10, s8
	s_cselect_b32 s9, s11, s9
	s_cselect_b32 s10, s12, s10
	s_add_i32 s11, s9, 1
	s_cmp_ge_u32 s10, s8
	s_cselect_b32 s12, s11, s9
	s_lshl_b64 s[10:11], s[2:3], 3
	s_mul_i32 s8, s12, s8
	s_delay_alu instid0(SALU_CYCLE_1)
	s_sub_i32 s13, s14, s8
	s_waitcnt lgkmcnt(0)
	s_add_u32 s2, s16, s10
	s_addc_u32 s3, s17, s11
	s_add_u32 s8, s18, s10
	s_addc_u32 s9, s19, s11
	s_load_b64 s[2:3], s[2:3], 0x0
	s_load_b64 s[8:9], s[8:9], 0x0
	v_lshl_add_u32 v0, s13, 5, v3
	s_mov_b32 s13, exec_lo
	v_cmpx_eq_u32_e32 0, v4
	s_cbranch_execz .LBB64_5
; %bb.2:
	v_dual_mov_b32 v1, 0 :: v_dual_mov_b32 v2, 0
	s_mov_b32 s14, exec_lo
	v_cmpx_gt_i32_e64 s4, v0
	s_cbranch_execz .LBB64_4
; %bb.3:
	s_clause 0x1
	s_load_b64 s[20:21], s[0:1], 0x18
	s_load_b128 s[16:19], s[0:1], 0x20
	v_ashrrev_i32_e32 v1, 31, v0
	s_waitcnt lgkmcnt(0)
	s_add_u32 s10, s20, s10
	s_addc_u32 s11, s21, s11
	v_mul_lo_u32 v5, v0, s19
	s_load_b64 s[10:11], s[10:11], 0x0
	v_mul_lo_u32 v6, v1, s18
	v_mad_u64_u32 v[1:2], null, v0, s18, 0
	s_lshl_b64 s[16:17], s[16:17], 3
	s_delay_alu instid0(VALU_DEP_1) | instskip(NEXT) | instid1(VALU_DEP_1)
	v_add3_u32 v2, v2, v5, v6
	v_lshlrev_b64 v[1:2], 3, v[1:2]
	s_waitcnt lgkmcnt(0)
	s_add_u32 s10, s10, s16
	s_addc_u32 s11, s11, s17
	s_delay_alu instid0(VALU_DEP_1) | instskip(NEXT) | instid1(VALU_DEP_2)
	v_add_co_u32 v1, vcc_lo, s10, v1
	v_add_co_ci_u32_e32 v2, vcc_lo, s11, v2, vcc_lo
	global_load_b64 v[1:2], v[1:2], off
.LBB64_4:
	s_or_b32 exec_lo, exec_lo, s14
	v_lshlrev_b32_e32 v5, 3, v3
	s_waitcnt vmcnt(0)
	ds_store_b64 v5, v[1:2] offset:512
.LBB64_5:
	s_or_b32 exec_lo, exec_lo, s13
	v_lshlrev_b32_e32 v5, 1, v4
	s_mov_b32 s10, exec_lo
	s_delay_alu instid0(VALU_DEP_1)
	v_lshl_add_u32 v4, s12, 6, v5
	v_cmpx_gt_u32_e32 2, v3
	s_cbranch_execz .LBB64_9
; %bb.6:
	s_delay_alu instid0(VALU_DEP_2) | instskip(SKIP_2) | instid1(VALU_DEP_2)
	v_or_b32_e32 v6, v4, v3
	v_dual_mov_b32 v1, 0 :: v_dual_mov_b32 v2, 0
	s_mov_b32 s11, exec_lo
	v_cmpx_gt_u32_e64 s5, v6
	s_cbranch_execz .LBB64_8
; %bb.7:
	s_load_b128 s[12:15], s[0:1], 0x40
	s_waitcnt lgkmcnt(0)
	v_mad_u64_u32 v[1:2], null, v6, s14, 0
	s_lshl_b64 s[12:13], s[12:13], 3
	s_delay_alu instid0(SALU_CYCLE_1) | instskip(SKIP_1) | instid1(VALU_DEP_1)
	s_add_u32 s2, s2, s12
	s_addc_u32 s3, s3, s13
	v_mad_u64_u32 v[7:8], null, v6, s15, v[2:3]
	s_delay_alu instid0(VALU_DEP_1) | instskip(NEXT) | instid1(VALU_DEP_1)
	v_mov_b32_e32 v2, v7
	v_lshlrev_b64 v[1:2], 3, v[1:2]
	s_delay_alu instid0(VALU_DEP_1) | instskip(NEXT) | instid1(VALU_DEP_2)
	v_add_co_u32 v1, vcc_lo, s2, v1
	v_add_co_ci_u32_e32 v2, vcc_lo, s3, v2, vcc_lo
	global_load_b64 v[1:2], v[1:2], off
.LBB64_8:
	s_or_b32 exec_lo, exec_lo, s11
	v_or_b32_e32 v6, v5, v3
	s_delay_alu instid0(VALU_DEP_1)
	v_lshlrev_b32_e32 v6, 3, v6
	s_waitcnt vmcnt(0)
	ds_store_b64 v6, v[1:2]
.LBB64_9:
	s_or_b32 exec_lo, exec_lo, s10
	s_waitcnt lgkmcnt(0)
	s_barrier
	buffer_gl0_inv
	s_mov_b32 s2, exec_lo
	v_cmpx_gt_i32_e64 s4, v0
	s_cbranch_execz .LBB64_14
; %bb.10:
	v_lshlrev_b32_e32 v1, 3, v3
	s_load_b128 s[0:3], s[0:1], 0x60
	ds_load_b64 v[2:3], v1 offset:512
	v_ashrrev_i32_e32 v1, 31, v0
	s_delay_alu instid0(VALU_DEP_1) | instskip(SKIP_2) | instid1(SALU_CYCLE_1)
	v_lshlrev_b64 v[6:7], 3, v[0:1]
	s_waitcnt lgkmcnt(0)
	s_lshl_b64 s[0:1], s[0:1], 3
	s_add_u32 s0, s8, s0
	s_addc_u32 s1, s9, s1
	v_mul_f32_e32 v1, s7, v3
	v_mul_f32_e32 v0, s6, v3
	v_add_co_u32 v3, s0, s0, v6
	s_delay_alu instid0(VALU_DEP_1) | instskip(NEXT) | instid1(VALU_DEP_4)
	v_add_co_ci_u32_e64 v6, s0, s1, v7, s0
	v_fma_f32 v1, v2, s6, -v1
	s_delay_alu instid0(VALU_DEP_4)
	v_fmac_f32_e32 v0, s7, v2
	v_lshlrev_b32_e32 v2, 3, v5
	s_mov_b32 s0, exec_lo
	v_cmpx_gt_i32_e64 s5, v4
	s_cbranch_execz .LBB64_12
; %bb.11:
	v_ashrrev_i32_e32 v5, 31, v4
	v_mul_lo_u32 v9, v4, s3
	v_mad_u64_u32 v[7:8], null, v4, s2, 0
	ds_load_b64 v[11:12], v2
	v_mul_lo_u32 v5, v5, s2
	s_delay_alu instid0(VALU_DEP_1) | instskip(NEXT) | instid1(VALU_DEP_1)
	v_add3_u32 v8, v8, v9, v5
	v_lshlrev_b64 v[7:8], 3, v[7:8]
	s_delay_alu instid0(VALU_DEP_1) | instskip(NEXT) | instid1(VALU_DEP_2)
	v_add_co_u32 v7, vcc_lo, v3, v7
	v_add_co_ci_u32_e32 v8, vcc_lo, v6, v8, vcc_lo
	global_load_b64 v[9:10], v[7:8], off
	s_waitcnt lgkmcnt(0)
	v_mul_f32_e32 v5, v0, v12
	v_mul_f32_e32 v12, v1, v12
	s_delay_alu instid0(VALU_DEP_2) | instskip(NEXT) | instid1(VALU_DEP_2)
	v_fmac_f32_e32 v5, v1, v11
	v_fma_f32 v11, v0, v11, -v12
	s_waitcnt vmcnt(0)
	s_delay_alu instid0(VALU_DEP_1)
	v_dual_add_f32 v10, v10, v11 :: v_dual_add_f32 v9, v9, v5
	global_store_b64 v[7:8], v[9:10], off
.LBB64_12:
	s_or_b32 exec_lo, exec_lo, s0
	v_or_b32_e32 v4, 1, v4
	s_delay_alu instid0(VALU_DEP_1)
	v_cmp_gt_i32_e32 vcc_lo, s5, v4
	s_and_b32 exec_lo, exec_lo, vcc_lo
	s_cbranch_execz .LBB64_14
; %bb.13:
	v_ashrrev_i32_e32 v5, 31, v4
	v_mul_lo_u32 v9, v4, s3
	v_mad_u64_u32 v[7:8], null, v4, s2, 0
	s_delay_alu instid0(VALU_DEP_3) | instskip(NEXT) | instid1(VALU_DEP_1)
	v_mul_lo_u32 v4, v5, s2
	v_add3_u32 v8, v8, v9, v4
	s_delay_alu instid0(VALU_DEP_1)
	v_lshlrev_b64 v[4:5], 3, v[7:8]
	ds_load_b64 v[7:8], v2 offset:8
	v_add_co_u32 v3, vcc_lo, v3, v4
	v_add_co_ci_u32_e32 v4, vcc_lo, v6, v5, vcc_lo
	global_load_b64 v[5:6], v[3:4], off
	s_waitcnt lgkmcnt(0)
	v_mul_f32_e32 v2, v0, v8
	v_mul_f32_e32 v8, v1, v8
	s_delay_alu instid0(VALU_DEP_2) | instskip(NEXT) | instid1(VALU_DEP_2)
	v_fmac_f32_e32 v2, v1, v7
	v_fma_f32 v1, v0, v7, -v8
	s_waitcnt vmcnt(0)
	s_delay_alu instid0(VALU_DEP_1)
	v_dual_add_f32 v1, v6, v1 :: v_dual_add_f32 v0, v5, v2
	global_store_b64 v[3:4], v[0:1], off
.LBB64_14:
	s_nop 0
	s_sendmsg sendmsg(MSG_DEALLOC_VGPRS)
	s_endpgm
	.section	.rodata,"a",@progbits
	.p2align	6, 0x0
	.amdhsa_kernel _ZL18rocblas_ger_kernelILi32ELi32ELi2ELb1E19rocblas_complex_numIfES1_PKPKS1_PKPS1_EviiT4_lT5_lllSA_lllT6_lmli
		.amdhsa_group_segment_fixed_size 768
		.amdhsa_private_segment_fixed_size 0
		.amdhsa_kernarg_size 124
		.amdhsa_user_sgpr_count 14
		.amdhsa_user_sgpr_dispatch_ptr 0
		.amdhsa_user_sgpr_queue_ptr 0
		.amdhsa_user_sgpr_kernarg_segment_ptr 1
		.amdhsa_user_sgpr_dispatch_id 0
		.amdhsa_user_sgpr_private_segment_size 0
		.amdhsa_wavefront_size32 1
		.amdhsa_uses_dynamic_stack 0
		.amdhsa_enable_private_segment 0
		.amdhsa_system_sgpr_workgroup_id_x 1
		.amdhsa_system_sgpr_workgroup_id_y 0
		.amdhsa_system_sgpr_workgroup_id_z 1
		.amdhsa_system_sgpr_workgroup_info 0
		.amdhsa_system_vgpr_workitem_id 1
		.amdhsa_next_free_vgpr 13
		.amdhsa_next_free_sgpr 22
		.amdhsa_reserve_vcc 1
		.amdhsa_float_round_mode_32 0
		.amdhsa_float_round_mode_16_64 0
		.amdhsa_float_denorm_mode_32 3
		.amdhsa_float_denorm_mode_16_64 3
		.amdhsa_dx10_clamp 1
		.amdhsa_ieee_mode 1
		.amdhsa_fp16_overflow 0
		.amdhsa_workgroup_processor_mode 1
		.amdhsa_memory_ordered 1
		.amdhsa_forward_progress 0
		.amdhsa_shared_vgpr_count 0
		.amdhsa_exception_fp_ieee_invalid_op 0
		.amdhsa_exception_fp_denorm_src 0
		.amdhsa_exception_fp_ieee_div_zero 0
		.amdhsa_exception_fp_ieee_overflow 0
		.amdhsa_exception_fp_ieee_underflow 0
		.amdhsa_exception_fp_ieee_inexact 0
		.amdhsa_exception_int_div_zero 0
	.end_amdhsa_kernel
	.section	.text._ZL18rocblas_ger_kernelILi32ELi32ELi2ELb1E19rocblas_complex_numIfES1_PKPKS1_PKPS1_EviiT4_lT5_lllSA_lllT6_lmli,"axG",@progbits,_ZL18rocblas_ger_kernelILi32ELi32ELi2ELb1E19rocblas_complex_numIfES1_PKPKS1_PKPS1_EviiT4_lT5_lllSA_lllT6_lmli,comdat
.Lfunc_end64:
	.size	_ZL18rocblas_ger_kernelILi32ELi32ELi2ELb1E19rocblas_complex_numIfES1_PKPKS1_PKPS1_EviiT4_lT5_lllSA_lllT6_lmli, .Lfunc_end64-_ZL18rocblas_ger_kernelILi32ELi32ELi2ELb1E19rocblas_complex_numIfES1_PKPKS1_PKPS1_EviiT4_lT5_lllSA_lllT6_lmli
                                        ; -- End function
	.section	.AMDGPU.csdata,"",@progbits
; Kernel info:
; codeLenInByte = 1076
; NumSgprs: 24
; NumVgprs: 13
; ScratchSize: 0
; MemoryBound: 0
; FloatMode: 240
; IeeeMode: 1
; LDSByteSize: 768 bytes/workgroup (compile time only)
; SGPRBlocks: 2
; VGPRBlocks: 1
; NumSGPRsForWavesPerEU: 24
; NumVGPRsForWavesPerEU: 13
; Occupancy: 16
; WaveLimiterHint : 1
; COMPUTE_PGM_RSRC2:SCRATCH_EN: 0
; COMPUTE_PGM_RSRC2:USER_SGPR: 14
; COMPUTE_PGM_RSRC2:TRAP_HANDLER: 0
; COMPUTE_PGM_RSRC2:TGID_X_EN: 1
; COMPUTE_PGM_RSRC2:TGID_Y_EN: 0
; COMPUTE_PGM_RSRC2:TGID_Z_EN: 1
; COMPUTE_PGM_RSRC2:TIDIG_COMP_CNT: 1
	.section	.text._ZL34rocblas_ger_double_buffered_kernelILb1ELi64ELi16ELi2E19rocblas_complex_numIdE24rocblas_internal_val_ptrIS1_EPKPKS1_PKPS1_EvbiiT4_lT5_lllSC_lllT6_lmli,"axG",@progbits,_ZL34rocblas_ger_double_buffered_kernelILb1ELi64ELi16ELi2E19rocblas_complex_numIdE24rocblas_internal_val_ptrIS1_EPKPKS1_PKPS1_EvbiiT4_lT5_lllSC_lllT6_lmli,comdat
	.globl	_ZL34rocblas_ger_double_buffered_kernelILb1ELi64ELi16ELi2E19rocblas_complex_numIdE24rocblas_internal_val_ptrIS1_EPKPKS1_PKPS1_EvbiiT4_lT5_lllSC_lllT6_lmli ; -- Begin function _ZL34rocblas_ger_double_buffered_kernelILb1ELi64ELi16ELi2E19rocblas_complex_numIdE24rocblas_internal_val_ptrIS1_EPKPKS1_PKPS1_EvbiiT4_lT5_lllSC_lllT6_lmli
	.p2align	8
	.type	_ZL34rocblas_ger_double_buffered_kernelILb1ELi64ELi16ELi2E19rocblas_complex_numIdE24rocblas_internal_val_ptrIS1_EPKPKS1_PKPS1_EvbiiT4_lT5_lllSC_lllT6_lmli,@function
_ZL34rocblas_ger_double_buffered_kernelILb1ELi64ELi16ELi2E19rocblas_complex_numIdE24rocblas_internal_val_ptrIS1_EPKPKS1_PKPS1_EvbiiT4_lT5_lllSC_lllT6_lmli: ; @_ZL34rocblas_ger_double_buffered_kernelILb1ELi64ELi16ELi2E19rocblas_complex_numIdE24rocblas_internal_val_ptrIS1_EPKPKS1_PKPS1_EvbiiT4_lT5_lllSC_lllT6_lmli
; %bb.0:
	s_clause 0x1
	s_load_b32 s3, s[0:1], 0x0
	s_load_b64 s[8:9], s[0:1], 0x10
	s_mov_b32 s2, s15
	s_waitcnt lgkmcnt(0)
	s_bitcmp0_b32 s3, 0
	s_mov_b32 s3, 0
	s_cbranch_scc0 .LBB65_2
; %bb.1:
	s_load_b64 s[4:5], s[0:1], 0x20
	s_waitcnt lgkmcnt(0)
	s_mul_i32 s5, s2, s5
	s_mul_hi_u32 s6, s2, s4
	s_mul_i32 s4, s2, s4
	s_add_i32 s5, s6, s5
	s_delay_alu instid0(SALU_CYCLE_1) | instskip(NEXT) | instid1(SALU_CYCLE_1)
	s_lshl_b64 s[4:5], s[4:5], 4
	s_add_u32 s4, s8, s4
	s_addc_u32 s5, s9, s5
	s_load_b128 s[4:7], s[4:5], 0x0
	s_and_not1_b32 vcc_lo, exec_lo, s3
	s_cbranch_vccz .LBB65_3
	s_branch .LBB65_4
.LBB65_2:
	s_mov_b32 s3, -1
                                        ; implicit-def: $sgpr6_sgpr7
.LBB65_3:
	s_waitcnt lgkmcnt(0)
	s_load_b64 s[6:7], s[0:1], 0x18
	s_mov_b32 s3, 0
	s_mov_b64 s[4:5], s[8:9]
.LBB65_4:
	s_waitcnt lgkmcnt(0)
	v_cmp_neq_f64_e64 s8, s[4:5], 0
	v_cmp_neq_f64_e64 s9, s[6:7], 0
	s_delay_alu instid0(VALU_DEP_1) | instskip(NEXT) | instid1(SALU_CYCLE_1)
	s_or_b32 s8, s8, s9
	s_and_not1_b32 vcc_lo, exec_lo, s8
	s_cbranch_vccnz .LBB65_6
; %bb.5:
	s_load_b64 s[16:17], s[0:1], 0x68
	s_lshl_b64 s[20:21], s[2:3], 3
	s_load_b128 s[8:11], s[0:1], 0x70
	v_and_b32_e32 v9, 0x3ff, v0
	v_bfe_u32 v0, v0, 10, 10
	s_delay_alu instid0(VALU_DEP_2) | instskip(NEXT) | instid1(VALU_DEP_1)
	v_and_b32_e32 v20, 31, v9
	v_or_b32_e32 v8, 32, v20
	s_waitcnt lgkmcnt(0)
	s_add_u32 s2, s16, s20
	s_addc_u32 s3, s17, s21
	s_load_b128 s[16:19], s[0:1], 0x50
	s_load_b64 s[2:3], s[2:3], 0x0
	s_load_b64 s[22:23], s[0:1], 0x48
	s_lshl_b64 s[8:9], s[8:9], 4
	s_waitcnt lgkmcnt(0)
	s_add_u32 s12, s2, s8
	s_addc_u32 s15, s3, s9
	s_add_u32 s2, s22, s20
	s_addc_u32 s3, s23, s21
	s_lshl_b64 s[16:17], s[16:17], 4
	s_load_b64 s[8:9], s[2:3], 0x0
	s_clause 0x1
	s_load_b64 s[22:23], s[0:1], 0x28
	s_load_b128 s[0:3], s[0:1], 0x30
	s_waitcnt lgkmcnt(0)
	s_add_u32 s16, s8, s16
	s_addc_u32 s17, s9, s17
	s_add_u32 s8, s22, s20
	s_addc_u32 s9, s23, s21
	v_mad_u64_u32 v[1:2], null, v20, s2, 0
	s_load_b64 s[8:9], s[8:9], 0x0
	v_mad_u64_u32 v[3:4], null, v8, s2, 0
	s_lshl_b64 s[0:1], s[0:1], 4
	s_delay_alu instid0(VALU_DEP_1) | instskip(NEXT) | instid1(VALU_DEP_1)
	v_mad_u64_u32 v[5:6], null, v20, s3, v[2:3]
	v_mov_b32_e32 v2, v5
	s_delay_alu instid0(VALU_DEP_3)
	v_mad_u64_u32 v[6:7], null, v8, s3, v[4:5]
	s_waitcnt lgkmcnt(0)
	s_add_u32 s20, s8, s0
	s_addc_u32 s21, s9, s1
	s_lshl_b32 s0, s13, 6
	v_lshl_add_u32 v0, v0, 6, v9
	s_ashr_i32 s1, s0, 31
	s_mul_i32 s3, s0, s3
	s_lshl_b64 s[8:9], s[0:1], 4
	s_mul_i32 s1, s1, s2
	s_add_u32 s12, s12, s8
	s_addc_u32 s13, s15, s9
	s_lshl_b32 s14, s14, 6
	v_lshrrev_b32_e32 v0, 4, v0
	s_mul_i32 s8, s14, s11
	s_mul_hi_u32 s9, s14, s10
	s_ashr_i32 s15, s14, 31
	s_add_i32 s9, s9, s8
	s_mul_i32 s22, s15, s10
	s_mul_i32 s8, s14, s10
	s_add_i32 s9, s9, s22
	s_mul_hi_u32 s22, s0, s2
	s_lshl_b64 s[8:9], s[8:9], 4
	v_dual_mov_b32 v4, v6 :: v_dual_and_b32 v21, 0x1ffe, v0
	s_add_u32 s8, s12, s8
	s_addc_u32 s9, s13, s9
	s_add_i32 s3, s22, s3
	s_mul_i32 s0, s0, s2
	s_add_i32 s1, s3, s1
	v_lshlrev_b64 v[1:2], 4, v[1:2]
	s_lshl_b64 s[0:1], s[0:1], 4
	v_lshlrev_b64 v[3:4], 4, v[3:4]
	s_add_u32 s0, s20, s0
	s_addc_u32 s1, s21, s1
	v_or_b32_e32 v15, 1, v0
	v_add_co_u32 v1, vcc_lo, s0, v1
	v_add_co_ci_u32_e32 v2, vcc_lo, s1, v2, vcc_lo
	v_add_co_u32 v5, vcc_lo, s0, v3
	v_add_co_ci_u32_e32 v6, vcc_lo, s1, v4, vcc_lo
	s_clause 0x1
	global_load_b128 v[1:4], v[1:2], off
	global_load_b128 v[5:8], v[5:6], off
	v_mad_u64_u32 v[9:10], null, v21, s18, 0
	v_mad_u64_u32 v[11:12], null, v15, s18, 0
	s_mul_i32 s0, s14, s19
	s_mul_hi_u32 s1, s14, s18
	s_mul_i32 s15, s15, s18
	s_add_i32 s1, s1, s0
	s_delay_alu instid0(VALU_DEP_2) | instskip(SKIP_1) | instid1(VALU_DEP_2)
	v_mov_b32_e32 v0, v10
	s_mul_i32 s0, s14, s18
	v_mov_b32_e32 v10, v12
	s_add_i32 s1, s1, s15
	s_lshl_b64 s[2:3], s[10:11], 4
	s_lshl_b64 s[0:1], s[0:1], 4
	v_mad_u64_u32 v[17:18], null, v21, s10, 0
	s_add_u32 s0, s16, s0
	s_addc_u32 s1, s17, s1
	s_waitcnt vmcnt(1)
	v_mad_u64_u32 v[12:13], null, v21, s19, v[0:1]
	v_mad_u64_u32 v[13:14], null, v15, s19, v[10:11]
	s_delay_alu instid0(VALU_DEP_3)
	v_mov_b32_e32 v0, v18
	v_mul_f64 v[37:38], s[4:5], v[3:4]
	v_mul_f64 v[3:4], s[6:7], v[3:4]
	s_waitcnt vmcnt(0)
	v_mul_f64 v[39:40], s[4:5], v[7:8]
	v_mov_b32_e32 v10, v12
	v_mad_u64_u32 v[18:19], null, v21, s11, v[0:1]
	v_mov_b32_e32 v12, v13
	v_lshlrev_b32_e32 v0, 4, v20
	s_delay_alu instid0(VALU_DEP_4) | instskip(SKIP_1) | instid1(VALU_DEP_4)
	v_lshlrev_b64 v[9:10], 4, v[9:10]
	v_mul_f64 v[7:8], s[6:7], v[7:8]
	v_lshlrev_b64 v[11:12], 4, v[11:12]
	v_lshlrev_b64 v[17:18], 4, v[17:18]
	s_delay_alu instid0(VALU_DEP_4) | instskip(SKIP_1) | instid1(VALU_DEP_4)
	v_add_co_u32 v9, vcc_lo, s0, v9
	v_add_co_ci_u32_e32 v10, vcc_lo, s1, v10, vcc_lo
	v_add_co_u32 v13, vcc_lo, s0, v11
	v_add_co_ci_u32_e32 v14, vcc_lo, s1, v12, vcc_lo
	s_clause 0x1
	global_load_b128 v[9:12], v[9:10], off
	global_load_b128 v[13:16], v[13:14], off
	v_add_co_u32 v17, vcc_lo, s8, v17
	v_add_co_ci_u32_e32 v18, vcc_lo, s9, v18, vcc_lo
	s_delay_alu instid0(VALU_DEP_2) | instskip(NEXT) | instid1(VALU_DEP_2)
	v_add_co_u32 v33, vcc_lo, v17, v0
	v_add_co_ci_u32_e32 v34, vcc_lo, 0, v18, vcc_lo
	s_delay_alu instid0(VALU_DEP_2) | instskip(NEXT) | instid1(VALU_DEP_2)
	v_add_co_u32 v35, vcc_lo, v33, s2
	v_add_co_ci_u32_e32 v36, vcc_lo, s3, v34, vcc_lo
	global_load_b128 v[17:20], v[33:34], off
	s_clause 0x1
	global_load_b128 v[21:24], v[35:36], off
	global_load_b128 v[25:28], v[33:34], off offset:512
	global_load_b128 v[29:32], v[35:36], off offset:512
	v_fma_f64 v[37:38], s[6:7], v[1:2], v[37:38]
	v_fma_f64 v[0:1], s[4:5], v[1:2], -v[3:4]
	v_fma_f64 v[2:3], s[6:7], v[5:6], v[39:40]
	v_fma_f64 v[4:5], s[4:5], v[5:6], -v[7:8]
	s_waitcnt vmcnt(5)
	s_delay_alu instid0(VALU_DEP_4) | instskip(NEXT) | instid1(VALU_DEP_4)
	v_mul_f64 v[6:7], v[37:38], v[11:12]
	v_mul_f64 v[39:40], v[0:1], v[11:12]
	s_waitcnt vmcnt(4)
	v_mul_f64 v[41:42], v[37:38], v[15:16]
	v_mul_f64 v[43:44], v[0:1], v[15:16]
	;; [unrolled: 1-line block ×6, first 2 shown]
	v_fma_f64 v[6:7], v[0:1], v[9:10], v[6:7]
	v_fma_f64 v[39:40], v[37:38], v[9:10], -v[39:40]
	v_fma_f64 v[41:42], v[0:1], v[13:14], v[41:42]
	v_fma_f64 v[37:38], v[37:38], v[13:14], -v[43:44]
	;; [unrolled: 2-line block ×4, first 2 shown]
	s_waitcnt vmcnt(3)
	v_add_f64 v[0:1], v[17:18], v[6:7]
	v_add_f64 v[2:3], v[19:20], v[39:40]
	s_waitcnt vmcnt(2)
	v_add_f64 v[4:5], v[21:22], v[41:42]
	v_add_f64 v[6:7], v[23:24], v[37:38]
	;; [unrolled: 3-line block ×4, first 2 shown]
	global_store_b128 v[33:34], v[0:3], off
	s_clause 0x1
	global_store_b128 v[35:36], v[4:7], off
	global_store_b128 v[33:34], v[8:11], off offset:512
	global_store_b128 v[35:36], v[12:15], off offset:512
.LBB65_6:
	s_nop 0
	s_sendmsg sendmsg(MSG_DEALLOC_VGPRS)
	s_endpgm
	.section	.rodata,"a",@progbits
	.p2align	6, 0x0
	.amdhsa_kernel _ZL34rocblas_ger_double_buffered_kernelILb1ELi64ELi16ELi2E19rocblas_complex_numIdE24rocblas_internal_val_ptrIS1_EPKPKS1_PKPS1_EvbiiT4_lT5_lllSC_lllT6_lmli
		.amdhsa_group_segment_fixed_size 0
		.amdhsa_private_segment_fixed_size 0
		.amdhsa_kernarg_size 140
		.amdhsa_user_sgpr_count 13
		.amdhsa_user_sgpr_dispatch_ptr 0
		.amdhsa_user_sgpr_queue_ptr 0
		.amdhsa_user_sgpr_kernarg_segment_ptr 1
		.amdhsa_user_sgpr_dispatch_id 0
		.amdhsa_user_sgpr_private_segment_size 0
		.amdhsa_wavefront_size32 1
		.amdhsa_uses_dynamic_stack 0
		.amdhsa_enable_private_segment 0
		.amdhsa_system_sgpr_workgroup_id_x 1
		.amdhsa_system_sgpr_workgroup_id_y 1
		.amdhsa_system_sgpr_workgroup_id_z 1
		.amdhsa_system_sgpr_workgroup_info 0
		.amdhsa_system_vgpr_workitem_id 1
		.amdhsa_next_free_vgpr 49
		.amdhsa_next_free_sgpr 24
		.amdhsa_reserve_vcc 1
		.amdhsa_float_round_mode_32 0
		.amdhsa_float_round_mode_16_64 0
		.amdhsa_float_denorm_mode_32 3
		.amdhsa_float_denorm_mode_16_64 3
		.amdhsa_dx10_clamp 1
		.amdhsa_ieee_mode 1
		.amdhsa_fp16_overflow 0
		.amdhsa_workgroup_processor_mode 1
		.amdhsa_memory_ordered 1
		.amdhsa_forward_progress 0
		.amdhsa_shared_vgpr_count 0
		.amdhsa_exception_fp_ieee_invalid_op 0
		.amdhsa_exception_fp_denorm_src 0
		.amdhsa_exception_fp_ieee_div_zero 0
		.amdhsa_exception_fp_ieee_overflow 0
		.amdhsa_exception_fp_ieee_underflow 0
		.amdhsa_exception_fp_ieee_inexact 0
		.amdhsa_exception_int_div_zero 0
	.end_amdhsa_kernel
	.section	.text._ZL34rocblas_ger_double_buffered_kernelILb1ELi64ELi16ELi2E19rocblas_complex_numIdE24rocblas_internal_val_ptrIS1_EPKPKS1_PKPS1_EvbiiT4_lT5_lllSC_lllT6_lmli,"axG",@progbits,_ZL34rocblas_ger_double_buffered_kernelILb1ELi64ELi16ELi2E19rocblas_complex_numIdE24rocblas_internal_val_ptrIS1_EPKPKS1_PKPS1_EvbiiT4_lT5_lllSC_lllT6_lmli,comdat
.Lfunc_end65:
	.size	_ZL34rocblas_ger_double_buffered_kernelILb1ELi64ELi16ELi2E19rocblas_complex_numIdE24rocblas_internal_val_ptrIS1_EPKPKS1_PKPS1_EvbiiT4_lT5_lllSC_lllT6_lmli, .Lfunc_end65-_ZL34rocblas_ger_double_buffered_kernelILb1ELi64ELi16ELi2E19rocblas_complex_numIdE24rocblas_internal_val_ptrIS1_EPKPKS1_PKPS1_EvbiiT4_lT5_lllSC_lllT6_lmli
                                        ; -- End function
	.section	.AMDGPU.csdata,"",@progbits
; Kernel info:
; codeLenInByte = 1196
; NumSgprs: 26
; NumVgprs: 49
; ScratchSize: 0
; MemoryBound: 0
; FloatMode: 240
; IeeeMode: 1
; LDSByteSize: 0 bytes/workgroup (compile time only)
; SGPRBlocks: 3
; VGPRBlocks: 6
; NumSGPRsForWavesPerEU: 26
; NumVGPRsForWavesPerEU: 49
; Occupancy: 16
; WaveLimiterHint : 1
; COMPUTE_PGM_RSRC2:SCRATCH_EN: 0
; COMPUTE_PGM_RSRC2:USER_SGPR: 13
; COMPUTE_PGM_RSRC2:TRAP_HANDLER: 0
; COMPUTE_PGM_RSRC2:TGID_X_EN: 1
; COMPUTE_PGM_RSRC2:TGID_Y_EN: 1
; COMPUTE_PGM_RSRC2:TGID_Z_EN: 1
; COMPUTE_PGM_RSRC2:TIDIG_COMP_CNT: 1
	.section	.text._ZL18rocblas_ger_kernelILi32ELi32ELi2ELb1E19rocblas_complex_numIdEPKS1_PKS3_PKPS1_EviiT4_lT5_lllSA_lllT6_lmli,"axG",@progbits,_ZL18rocblas_ger_kernelILi32ELi32ELi2ELb1E19rocblas_complex_numIdEPKS1_PKS3_PKPS1_EviiT4_lT5_lllSA_lllT6_lmli,comdat
	.globl	_ZL18rocblas_ger_kernelILi32ELi32ELi2ELb1E19rocblas_complex_numIdEPKS1_PKS3_PKPS1_EviiT4_lT5_lllSA_lllT6_lmli ; -- Begin function _ZL18rocblas_ger_kernelILi32ELi32ELi2ELb1E19rocblas_complex_numIdEPKS1_PKS3_PKPS1_EviiT4_lT5_lllSA_lllT6_lmli
	.p2align	8
	.type	_ZL18rocblas_ger_kernelILi32ELi32ELi2ELb1E19rocblas_complex_numIdEPKS1_PKS3_PKPS1_EviiT4_lT5_lllSA_lllT6_lmli,@function
_ZL18rocblas_ger_kernelILi32ELi32ELi2ELb1E19rocblas_complex_numIdEPKS1_PKS3_PKPS1_EviiT4_lT5_lllSA_lllT6_lmli: ; @_ZL18rocblas_ger_kernelILi32ELi32ELi2ELb1E19rocblas_complex_numIdEPKS1_PKS3_PKPS1_EviiT4_lT5_lllSA_lllT6_lmli
; %bb.0:
	s_clause 0x1
	s_load_b64 s[8:9], s[0:1], 0x0
	s_load_b128 s[4:7], s[0:1], 0x8
	s_waitcnt lgkmcnt(0)
	s_add_i32 s3, s8, -1
	s_mul_i32 s7, s15, s7
	s_ashr_i32 s10, s3, 31
	s_mul_hi_u32 s11, s15, s6
	s_lshr_b32 s10, s10, 27
	s_mul_i32 s6, s15, s6
	s_add_i32 s3, s3, s10
	s_add_i32 s7, s11, s7
	s_ashr_i32 s3, s3, 5
	s_lshl_b64 s[6:7], s[6:7], 4
	s_add_i32 s10, s3, 1
	s_add_u32 s4, s4, s6
	s_addc_u32 s5, s5, s7
	v_cvt_f32_u32_e32 v1, s10
	s_load_b128 s[4:7], s[4:5], 0x0
	s_delay_alu instid0(VALU_DEP_1) | instskip(SKIP_2) | instid1(VALU_DEP_1)
	v_rcp_iflag_f32_e32 v1, v1
	s_waitcnt_depctr 0xfff
	v_mul_f32_e32 v1, 0x4f7ffffe, v1
	v_cvt_u32_f32_e32 v1, v1
	s_waitcnt lgkmcnt(0)
	v_cmp_neq_f64_e64 s11, s[4:5], 0
	v_cmp_neq_f64_e64 s12, s[6:7], 0
	s_delay_alu instid0(VALU_DEP_1)
	s_or_b32 s12, s11, s12
	v_readfirstlane_b32 s11, v1
	s_and_not1_b32 vcc_lo, exec_lo, s12
	s_cbranch_vccnz .LBB66_14
; %bb.1:
	s_not_b32 s3, s3
	s_clause 0x1
	s_load_b64 s[16:17], s[0:1], 0x38
	s_load_b64 s[18:19], s[0:1], 0x58
	s_mul_i32 s3, s3, s11
	s_mov_b32 s2, s15
	s_mul_hi_u32 s3, s11, s3
	v_and_b32_e32 v5, 0x3ff, v0
	s_add_i32 s11, s11, s3
	v_bfe_u32 v6, v0, 10, 10
	s_mul_hi_u32 s3, s14, s11
	s_delay_alu instid0(SALU_CYCLE_1) | instskip(SKIP_2) | instid1(SALU_CYCLE_1)
	s_mul_i32 s11, s3, s10
	s_add_i32 s12, s3, 1
	s_sub_i32 s11, s14, s11
	s_sub_i32 s13, s11, s10
	s_cmp_ge_u32 s11, s10
	s_cselect_b32 s3, s12, s3
	s_cselect_b32 s11, s13, s11
	s_add_i32 s12, s3, 1
	s_cmp_ge_u32 s11, s10
	s_cselect_b32 s15, s12, s3
	s_mov_b32 s3, 0
	s_mul_i32 s10, s15, s10
	s_lshl_b64 s[12:13], s[2:3], 3
	s_sub_i32 s14, s14, s10
	s_waitcnt lgkmcnt(0)
	s_add_u32 s2, s16, s12
	s_addc_u32 s3, s17, s13
	s_add_u32 s10, s18, s12
	s_addc_u32 s11, s19, s13
	s_load_b64 s[2:3], s[2:3], 0x0
	s_load_b64 s[10:11], s[10:11], 0x0
	v_lshl_add_u32 v4, s14, 5, v5
	s_mov_b32 s14, exec_lo
	v_cmpx_eq_u32_e32 0, v6
	s_cbranch_execz .LBB66_5
; %bb.2:
	v_mov_b32_e32 v0, 0
	v_mov_b32_e32 v1, 0
	s_mov_b32 s16, exec_lo
	s_delay_alu instid0(VALU_DEP_1)
	v_dual_mov_b32 v3, v1 :: v_dual_mov_b32 v2, v0
	v_cmpx_gt_i32_e64 s8, v4
	s_cbranch_execz .LBB66_4
; %bb.3:
	s_clause 0x1
	s_load_b64 s[18:19], s[0:1], 0x18
	s_load_b128 s[20:23], s[0:1], 0x20
	v_ashrrev_i32_e32 v0, 31, v4
	s_waitcnt lgkmcnt(0)
	s_add_u32 s12, s18, s12
	s_addc_u32 s13, s19, s13
	v_mul_lo_u32 v2, v4, s23
	s_load_b64 s[12:13], s[12:13], 0x0
	v_mul_lo_u32 v3, v0, s22
	v_mad_u64_u32 v[0:1], null, v4, s22, 0
	s_lshl_b64 s[18:19], s[20:21], 4
	s_delay_alu instid0(VALU_DEP_1) | instskip(NEXT) | instid1(VALU_DEP_1)
	v_add3_u32 v1, v1, v2, v3
	v_lshlrev_b64 v[0:1], 4, v[0:1]
	s_waitcnt lgkmcnt(0)
	s_add_u32 s12, s12, s18
	s_addc_u32 s13, s13, s19
	s_delay_alu instid0(VALU_DEP_1) | instskip(NEXT) | instid1(VALU_DEP_2)
	v_add_co_u32 v0, vcc_lo, s12, v0
	v_add_co_ci_u32_e32 v1, vcc_lo, s13, v1, vcc_lo
	global_load_b128 v[0:3], v[0:1], off
.LBB66_4:
	s_or_b32 exec_lo, exec_lo, s16
	v_lshlrev_b32_e32 v7, 4, v5
	s_waitcnt vmcnt(0)
	ds_store_b128 v7, v[0:3] offset:1024
.LBB66_5:
	s_or_b32 exec_lo, exec_lo, s14
	v_lshlrev_b32_e32 v7, 1, v6
	s_mov_b32 s12, exec_lo
	s_delay_alu instid0(VALU_DEP_1)
	v_lshl_add_u32 v6, s15, 6, v7
	v_cmpx_gt_u32_e32 2, v5
	s_cbranch_execz .LBB66_9
; %bb.6:
	v_mov_b32_e32 v0, 0
	v_mov_b32_e32 v1, 0
	v_or_b32_e32 v8, v6, v5
	s_mov_b32 s13, exec_lo
	s_delay_alu instid0(VALU_DEP_2) | instskip(NEXT) | instid1(VALU_DEP_2)
	v_dual_mov_b32 v3, v1 :: v_dual_mov_b32 v2, v0
	v_cmpx_gt_u32_e64 s9, v8
	s_cbranch_execz .LBB66_8
; %bb.7:
	s_load_b128 s[16:19], s[0:1], 0x40
	s_waitcnt lgkmcnt(0)
	v_mad_u64_u32 v[0:1], null, v8, s18, 0
	s_lshl_b64 s[14:15], s[16:17], 4
	s_delay_alu instid0(SALU_CYCLE_1) | instskip(SKIP_1) | instid1(VALU_DEP_1)
	s_add_u32 s2, s2, s14
	s_addc_u32 s3, s3, s15
	v_mad_u64_u32 v[2:3], null, v8, s19, v[1:2]
	s_delay_alu instid0(VALU_DEP_1) | instskip(NEXT) | instid1(VALU_DEP_1)
	v_mov_b32_e32 v1, v2
	v_lshlrev_b64 v[0:1], 4, v[0:1]
	s_delay_alu instid0(VALU_DEP_1) | instskip(NEXT) | instid1(VALU_DEP_2)
	v_add_co_u32 v0, vcc_lo, s2, v0
	v_add_co_ci_u32_e32 v1, vcc_lo, s3, v1, vcc_lo
	global_load_b128 v[0:3], v[0:1], off
.LBB66_8:
	s_or_b32 exec_lo, exec_lo, s13
	v_or_b32_e32 v8, v7, v5
	s_delay_alu instid0(VALU_DEP_1)
	v_lshlrev_b32_e32 v8, 4, v8
	s_waitcnt vmcnt(0)
	ds_store_b128 v8, v[0:3]
.LBB66_9:
	s_or_b32 exec_lo, exec_lo, s12
	s_waitcnt lgkmcnt(0)
	s_barrier
	buffer_gl0_inv
	s_mov_b32 s2, exec_lo
	v_cmpx_gt_i32_e64 s8, v4
	s_cbranch_execz .LBB66_14
; %bb.10:
	v_lshlrev_b32_e32 v0, 4, v5
	s_load_b128 s[0:3], s[0:1], 0x60
	v_ashrrev_i32_e32 v5, 31, v4
	ds_load_b128 v[8:11], v0 offset:1024
	s_waitcnt lgkmcnt(0)
	s_lshl_b64 s[0:1], s[0:1], 4
	s_delay_alu instid0(SALU_CYCLE_1) | instskip(SKIP_3) | instid1(VALU_DEP_2)
	s_add_u32 s0, s10, s0
	s_addc_u32 s1, s11, s1
	v_mul_f64 v[0:1], s[6:7], v[10:11]
	v_mul_f64 v[2:3], s[4:5], v[10:11]
	v_fma_f64 v[0:1], s[4:5], v[8:9], -v[0:1]
	s_delay_alu instid0(VALU_DEP_2) | instskip(SKIP_2) | instid1(VALU_DEP_2)
	v_fma_f64 v[2:3], s[6:7], v[8:9], v[2:3]
	v_lshlrev_b64 v[8:9], 4, v[4:5]
	v_lshlrev_b32_e32 v4, 4, v7
	v_add_co_u32 v5, vcc_lo, s0, v8
	s_delay_alu instid0(VALU_DEP_3)
	v_add_co_ci_u32_e32 v8, vcc_lo, s1, v9, vcc_lo
	s_mov_b32 s0, exec_lo
	v_cmpx_gt_i32_e64 s9, v6
	s_cbranch_execz .LBB66_12
; %bb.11:
	v_ashrrev_i32_e32 v7, 31, v6
	v_mul_lo_u32 v11, v6, s3
	v_mad_u64_u32 v[9:10], null, v6, s2, 0
	ds_load_b128 v[13:16], v4
	v_mul_lo_u32 v7, v7, s2
	s_delay_alu instid0(VALU_DEP_1) | instskip(NEXT) | instid1(VALU_DEP_1)
	v_add3_u32 v10, v10, v11, v7
	v_lshlrev_b64 v[9:10], 4, v[9:10]
	s_waitcnt lgkmcnt(0)
	v_mul_f64 v[19:20], v[2:3], v[15:16]
	s_delay_alu instid0(VALU_DEP_2) | instskip(NEXT) | instid1(VALU_DEP_3)
	v_add_co_u32 v17, vcc_lo, v5, v9
	v_add_co_ci_u32_e32 v18, vcc_lo, v8, v10, vcc_lo
	v_mul_f64 v[15:16], v[0:1], v[15:16]
	global_load_b128 v[9:12], v[17:18], off
	v_fma_f64 v[19:20], v[0:1], v[13:14], v[19:20]
	v_fma_f64 v[13:14], v[2:3], v[13:14], -v[15:16]
	s_waitcnt vmcnt(0)
	s_delay_alu instid0(VALU_DEP_2) | instskip(NEXT) | instid1(VALU_DEP_2)
	v_add_f64 v[9:10], v[9:10], v[19:20]
	v_add_f64 v[11:12], v[11:12], v[13:14]
	global_store_b128 v[17:18], v[9:12], off
.LBB66_12:
	s_or_b32 exec_lo, exec_lo, s0
	v_or_b32_e32 v6, 1, v6
	s_delay_alu instid0(VALU_DEP_1)
	v_cmp_gt_i32_e32 vcc_lo, s9, v6
	s_and_b32 exec_lo, exec_lo, vcc_lo
	s_cbranch_execz .LBB66_14
; %bb.13:
	v_ashrrev_i32_e32 v7, 31, v6
	v_mul_lo_u32 v11, v6, s3
	v_mad_u64_u32 v[9:10], null, v6, s2, 0
	s_delay_alu instid0(VALU_DEP_3) | instskip(NEXT) | instid1(VALU_DEP_1)
	v_mul_lo_u32 v6, v7, s2
	v_add3_u32 v10, v10, v11, v6
	s_delay_alu instid0(VALU_DEP_1)
	v_lshlrev_b64 v[6:7], 4, v[9:10]
	ds_load_b128 v[9:12], v4 offset:16
	v_add_co_u32 v13, vcc_lo, v5, v6
	v_add_co_ci_u32_e32 v14, vcc_lo, v8, v7, vcc_lo
	global_load_b128 v[5:8], v[13:14], off
	s_waitcnt lgkmcnt(0)
	v_mul_f64 v[15:16], v[2:3], v[11:12]
	v_mul_f64 v[11:12], v[0:1], v[11:12]
	s_delay_alu instid0(VALU_DEP_2) | instskip(NEXT) | instid1(VALU_DEP_2)
	v_fma_f64 v[0:1], v[0:1], v[9:10], v[15:16]
	v_fma_f64 v[2:3], v[2:3], v[9:10], -v[11:12]
	s_waitcnt vmcnt(0)
	s_delay_alu instid0(VALU_DEP_2) | instskip(NEXT) | instid1(VALU_DEP_2)
	v_add_f64 v[0:1], v[5:6], v[0:1]
	v_add_f64 v[2:3], v[7:8], v[2:3]
	global_store_b128 v[13:14], v[0:3], off
.LBB66_14:
	s_nop 0
	s_sendmsg sendmsg(MSG_DEALLOC_VGPRS)
	s_endpgm
	.section	.rodata,"a",@progbits
	.p2align	6, 0x0
	.amdhsa_kernel _ZL18rocblas_ger_kernelILi32ELi32ELi2ELb1E19rocblas_complex_numIdEPKS1_PKS3_PKPS1_EviiT4_lT5_lllSA_lllT6_lmli
		.amdhsa_group_segment_fixed_size 1536
		.amdhsa_private_segment_fixed_size 0
		.amdhsa_kernarg_size 124
		.amdhsa_user_sgpr_count 14
		.amdhsa_user_sgpr_dispatch_ptr 0
		.amdhsa_user_sgpr_queue_ptr 0
		.amdhsa_user_sgpr_kernarg_segment_ptr 1
		.amdhsa_user_sgpr_dispatch_id 0
		.amdhsa_user_sgpr_private_segment_size 0
		.amdhsa_wavefront_size32 1
		.amdhsa_uses_dynamic_stack 0
		.amdhsa_enable_private_segment 0
		.amdhsa_system_sgpr_workgroup_id_x 1
		.amdhsa_system_sgpr_workgroup_id_y 0
		.amdhsa_system_sgpr_workgroup_id_z 1
		.amdhsa_system_sgpr_workgroup_info 0
		.amdhsa_system_vgpr_workitem_id 1
		.amdhsa_next_free_vgpr 21
		.amdhsa_next_free_sgpr 24
		.amdhsa_reserve_vcc 1
		.amdhsa_float_round_mode_32 0
		.amdhsa_float_round_mode_16_64 0
		.amdhsa_float_denorm_mode_32 3
		.amdhsa_float_denorm_mode_16_64 3
		.amdhsa_dx10_clamp 1
		.amdhsa_ieee_mode 1
		.amdhsa_fp16_overflow 0
		.amdhsa_workgroup_processor_mode 1
		.amdhsa_memory_ordered 1
		.amdhsa_forward_progress 0
		.amdhsa_shared_vgpr_count 0
		.amdhsa_exception_fp_ieee_invalid_op 0
		.amdhsa_exception_fp_denorm_src 0
		.amdhsa_exception_fp_ieee_div_zero 0
		.amdhsa_exception_fp_ieee_overflow 0
		.amdhsa_exception_fp_ieee_underflow 0
		.amdhsa_exception_fp_ieee_inexact 0
		.amdhsa_exception_int_div_zero 0
	.end_amdhsa_kernel
	.section	.text._ZL18rocblas_ger_kernelILi32ELi32ELi2ELb1E19rocblas_complex_numIdEPKS1_PKS3_PKPS1_EviiT4_lT5_lllSA_lllT6_lmli,"axG",@progbits,_ZL18rocblas_ger_kernelILi32ELi32ELi2ELb1E19rocblas_complex_numIdEPKS1_PKS3_PKPS1_EviiT4_lT5_lllSA_lllT6_lmli,comdat
.Lfunc_end66:
	.size	_ZL18rocblas_ger_kernelILi32ELi32ELi2ELb1E19rocblas_complex_numIdEPKS1_PKS3_PKPS1_EviiT4_lT5_lllSA_lllT6_lmli, .Lfunc_end66-_ZL18rocblas_ger_kernelILi32ELi32ELi2ELb1E19rocblas_complex_numIdEPKS1_PKS3_PKPS1_EviiT4_lT5_lllSA_lllT6_lmli
                                        ; -- End function
	.section	.AMDGPU.csdata,"",@progbits
; Kernel info:
; codeLenInByte = 1192
; NumSgprs: 26
; NumVgprs: 21
; ScratchSize: 0
; MemoryBound: 0
; FloatMode: 240
; IeeeMode: 1
; LDSByteSize: 1536 bytes/workgroup (compile time only)
; SGPRBlocks: 3
; VGPRBlocks: 2
; NumSGPRsForWavesPerEU: 26
; NumVGPRsForWavesPerEU: 21
; Occupancy: 16
; WaveLimiterHint : 1
; COMPUTE_PGM_RSRC2:SCRATCH_EN: 0
; COMPUTE_PGM_RSRC2:USER_SGPR: 14
; COMPUTE_PGM_RSRC2:TRAP_HANDLER: 0
; COMPUTE_PGM_RSRC2:TGID_X_EN: 1
; COMPUTE_PGM_RSRC2:TGID_Y_EN: 0
; COMPUTE_PGM_RSRC2:TGID_Z_EN: 1
; COMPUTE_PGM_RSRC2:TIDIG_COMP_CNT: 1
	.section	.text._ZL18rocblas_ger_kernelILi32ELi32ELi2ELb1E19rocblas_complex_numIdES1_PKPKS1_PKPS1_EviiT4_lT5_lllSA_lllT6_lmli,"axG",@progbits,_ZL18rocblas_ger_kernelILi32ELi32ELi2ELb1E19rocblas_complex_numIdES1_PKPKS1_PKPS1_EviiT4_lT5_lllSA_lllT6_lmli,comdat
	.globl	_ZL18rocblas_ger_kernelILi32ELi32ELi2ELb1E19rocblas_complex_numIdES1_PKPKS1_PKPS1_EviiT4_lT5_lllSA_lllT6_lmli ; -- Begin function _ZL18rocblas_ger_kernelILi32ELi32ELi2ELb1E19rocblas_complex_numIdES1_PKPKS1_PKPS1_EviiT4_lT5_lllSA_lllT6_lmli
	.p2align	8
	.type	_ZL18rocblas_ger_kernelILi32ELi32ELi2ELb1E19rocblas_complex_numIdES1_PKPKS1_PKPS1_EviiT4_lT5_lllSA_lllT6_lmli,@function
_ZL18rocblas_ger_kernelILi32ELi32ELi2ELb1E19rocblas_complex_numIdES1_PKPKS1_PKPS1_EviiT4_lT5_lllSA_lllT6_lmli: ; @_ZL18rocblas_ger_kernelILi32ELi32ELi2ELb1E19rocblas_complex_numIdES1_PKPKS1_PKPS1_EviiT4_lT5_lllSA_lllT6_lmli
; %bb.0:
	s_clause 0x1
	s_load_b128 s[4:7], s[0:1], 0x8
	s_load_b64 s[8:9], s[0:1], 0x0
	s_waitcnt lgkmcnt(0)
	v_cmp_neq_f64_e64 s11, s[4:5], 0
	v_cmp_neq_f64_e64 s12, s[6:7], 0
	s_add_i32 s3, s8, -1
	s_delay_alu instid0(SALU_CYCLE_1) | instskip(NEXT) | instid1(SALU_CYCLE_1)
	s_ashr_i32 s10, s3, 31
	s_lshr_b32 s10, s10, 27
	s_delay_alu instid0(SALU_CYCLE_1) | instskip(NEXT) | instid1(SALU_CYCLE_1)
	s_add_i32 s3, s3, s10
	s_ashr_i32 s3, s3, 5
	s_delay_alu instid0(SALU_CYCLE_1) | instskip(NEXT) | instid1(SALU_CYCLE_1)
	s_add_i32 s10, s3, 1
	v_cvt_f32_u32_e32 v1, s10
	s_delay_alu instid0(VALU_DEP_1) | instskip(SKIP_2) | instid1(VALU_DEP_1)
	v_rcp_iflag_f32_e32 v1, v1
	s_waitcnt_depctr 0xfff
	v_mul_f32_e32 v1, 0x4f7ffffe, v1
	v_cvt_u32_f32_e32 v1, v1
	s_or_b32 s12, s11, s12
	s_delay_alu instid0(VALU_DEP_1)
	v_readfirstlane_b32 s11, v1
	s_and_not1_b32 vcc_lo, exec_lo, s12
	s_cbranch_vccnz .LBB67_14
; %bb.1:
	s_not_b32 s3, s3
	s_clause 0x1
	s_load_b64 s[16:17], s[0:1], 0x40
	s_load_b64 s[18:19], s[0:1], 0x60
	s_mul_i32 s3, s3, s11
	s_mov_b32 s2, s15
	s_mul_hi_u32 s3, s11, s3
	v_and_b32_e32 v5, 0x3ff, v0
	s_add_i32 s11, s11, s3
	v_bfe_u32 v6, v0, 10, 10
	s_mul_hi_u32 s3, s14, s11
	s_delay_alu instid0(SALU_CYCLE_1) | instskip(SKIP_2) | instid1(SALU_CYCLE_1)
	s_mul_i32 s11, s3, s10
	s_add_i32 s12, s3, 1
	s_sub_i32 s11, s14, s11
	s_sub_i32 s13, s11, s10
	s_cmp_ge_u32 s11, s10
	s_cselect_b32 s3, s12, s3
	s_cselect_b32 s11, s13, s11
	s_add_i32 s12, s3, 1
	s_cmp_ge_u32 s11, s10
	s_cselect_b32 s15, s12, s3
	s_mov_b32 s3, 0
	s_mul_i32 s10, s15, s10
	s_lshl_b64 s[12:13], s[2:3], 3
	s_sub_i32 s14, s14, s10
	s_waitcnt lgkmcnt(0)
	s_add_u32 s2, s16, s12
	s_addc_u32 s3, s17, s13
	s_add_u32 s10, s18, s12
	s_addc_u32 s11, s19, s13
	s_load_b64 s[2:3], s[2:3], 0x0
	s_load_b64 s[10:11], s[10:11], 0x0
	v_lshl_add_u32 v4, s14, 5, v5
	s_mov_b32 s14, exec_lo
	v_cmpx_eq_u32_e32 0, v6
	s_cbranch_execz .LBB67_5
; %bb.2:
	v_mov_b32_e32 v0, 0
	v_mov_b32_e32 v1, 0
	s_mov_b32 s16, exec_lo
	s_delay_alu instid0(VALU_DEP_1)
	v_dual_mov_b32 v3, v1 :: v_dual_mov_b32 v2, v0
	v_cmpx_gt_i32_e64 s8, v4
	s_cbranch_execz .LBB67_4
; %bb.3:
	s_clause 0x1
	s_load_b64 s[18:19], s[0:1], 0x20
	s_load_b128 s[20:23], s[0:1], 0x28
	v_ashrrev_i32_e32 v0, 31, v4
	s_waitcnt lgkmcnt(0)
	s_add_u32 s12, s18, s12
	s_addc_u32 s13, s19, s13
	v_mul_lo_u32 v2, v4, s23
	s_load_b64 s[12:13], s[12:13], 0x0
	v_mul_lo_u32 v3, v0, s22
	v_mad_u64_u32 v[0:1], null, v4, s22, 0
	s_lshl_b64 s[18:19], s[20:21], 4
	s_delay_alu instid0(VALU_DEP_1) | instskip(NEXT) | instid1(VALU_DEP_1)
	v_add3_u32 v1, v1, v2, v3
	v_lshlrev_b64 v[0:1], 4, v[0:1]
	s_waitcnt lgkmcnt(0)
	s_add_u32 s12, s12, s18
	s_addc_u32 s13, s13, s19
	s_delay_alu instid0(VALU_DEP_1) | instskip(NEXT) | instid1(VALU_DEP_2)
	v_add_co_u32 v0, vcc_lo, s12, v0
	v_add_co_ci_u32_e32 v1, vcc_lo, s13, v1, vcc_lo
	global_load_b128 v[0:3], v[0:1], off
.LBB67_4:
	s_or_b32 exec_lo, exec_lo, s16
	v_lshlrev_b32_e32 v7, 4, v5
	s_waitcnt vmcnt(0)
	ds_store_b128 v7, v[0:3] offset:1024
.LBB67_5:
	s_or_b32 exec_lo, exec_lo, s14
	v_lshlrev_b32_e32 v7, 1, v6
	s_mov_b32 s12, exec_lo
	s_delay_alu instid0(VALU_DEP_1)
	v_lshl_add_u32 v6, s15, 6, v7
	v_cmpx_gt_u32_e32 2, v5
	s_cbranch_execz .LBB67_9
; %bb.6:
	v_mov_b32_e32 v0, 0
	v_mov_b32_e32 v1, 0
	v_or_b32_e32 v8, v6, v5
	s_mov_b32 s13, exec_lo
	s_delay_alu instid0(VALU_DEP_2) | instskip(NEXT) | instid1(VALU_DEP_2)
	v_dual_mov_b32 v3, v1 :: v_dual_mov_b32 v2, v0
	v_cmpx_gt_u32_e64 s9, v8
	s_cbranch_execz .LBB67_8
; %bb.7:
	s_load_b128 s[16:19], s[0:1], 0x48
	s_waitcnt lgkmcnt(0)
	v_mad_u64_u32 v[0:1], null, v8, s18, 0
	s_lshl_b64 s[14:15], s[16:17], 4
	s_delay_alu instid0(SALU_CYCLE_1) | instskip(SKIP_1) | instid1(VALU_DEP_1)
	s_add_u32 s2, s2, s14
	s_addc_u32 s3, s3, s15
	v_mad_u64_u32 v[2:3], null, v8, s19, v[1:2]
	s_delay_alu instid0(VALU_DEP_1) | instskip(NEXT) | instid1(VALU_DEP_1)
	v_mov_b32_e32 v1, v2
	v_lshlrev_b64 v[0:1], 4, v[0:1]
	s_delay_alu instid0(VALU_DEP_1) | instskip(NEXT) | instid1(VALU_DEP_2)
	v_add_co_u32 v0, vcc_lo, s2, v0
	v_add_co_ci_u32_e32 v1, vcc_lo, s3, v1, vcc_lo
	global_load_b128 v[0:3], v[0:1], off
.LBB67_8:
	s_or_b32 exec_lo, exec_lo, s13
	v_or_b32_e32 v8, v7, v5
	s_delay_alu instid0(VALU_DEP_1)
	v_lshlrev_b32_e32 v8, 4, v8
	s_waitcnt vmcnt(0)
	ds_store_b128 v8, v[0:3]
.LBB67_9:
	s_or_b32 exec_lo, exec_lo, s12
	s_waitcnt lgkmcnt(0)
	s_barrier
	buffer_gl0_inv
	s_mov_b32 s2, exec_lo
	v_cmpx_gt_i32_e64 s8, v4
	s_cbranch_execz .LBB67_14
; %bb.10:
	v_lshlrev_b32_e32 v0, 4, v5
	s_load_b128 s[0:3], s[0:1], 0x68
	v_ashrrev_i32_e32 v5, 31, v4
	ds_load_b128 v[8:11], v0 offset:1024
	s_waitcnt lgkmcnt(0)
	s_lshl_b64 s[0:1], s[0:1], 4
	s_delay_alu instid0(SALU_CYCLE_1) | instskip(SKIP_3) | instid1(VALU_DEP_2)
	s_add_u32 s0, s10, s0
	s_addc_u32 s1, s11, s1
	v_mul_f64 v[0:1], s[6:7], v[10:11]
	v_mul_f64 v[2:3], s[4:5], v[10:11]
	v_fma_f64 v[0:1], s[4:5], v[8:9], -v[0:1]
	s_delay_alu instid0(VALU_DEP_2) | instskip(SKIP_2) | instid1(VALU_DEP_2)
	v_fma_f64 v[2:3], s[6:7], v[8:9], v[2:3]
	v_lshlrev_b64 v[8:9], 4, v[4:5]
	v_lshlrev_b32_e32 v4, 4, v7
	v_add_co_u32 v5, vcc_lo, s0, v8
	s_delay_alu instid0(VALU_DEP_3)
	v_add_co_ci_u32_e32 v8, vcc_lo, s1, v9, vcc_lo
	s_mov_b32 s0, exec_lo
	v_cmpx_gt_i32_e64 s9, v6
	s_cbranch_execz .LBB67_12
; %bb.11:
	v_ashrrev_i32_e32 v7, 31, v6
	v_mul_lo_u32 v11, v6, s3
	v_mad_u64_u32 v[9:10], null, v6, s2, 0
	ds_load_b128 v[13:16], v4
	v_mul_lo_u32 v7, v7, s2
	s_delay_alu instid0(VALU_DEP_1) | instskip(NEXT) | instid1(VALU_DEP_1)
	v_add3_u32 v10, v10, v11, v7
	v_lshlrev_b64 v[9:10], 4, v[9:10]
	s_waitcnt lgkmcnt(0)
	v_mul_f64 v[19:20], v[2:3], v[15:16]
	s_delay_alu instid0(VALU_DEP_2) | instskip(NEXT) | instid1(VALU_DEP_3)
	v_add_co_u32 v17, vcc_lo, v5, v9
	v_add_co_ci_u32_e32 v18, vcc_lo, v8, v10, vcc_lo
	v_mul_f64 v[15:16], v[0:1], v[15:16]
	global_load_b128 v[9:12], v[17:18], off
	v_fma_f64 v[19:20], v[0:1], v[13:14], v[19:20]
	v_fma_f64 v[13:14], v[2:3], v[13:14], -v[15:16]
	s_waitcnt vmcnt(0)
	s_delay_alu instid0(VALU_DEP_2) | instskip(NEXT) | instid1(VALU_DEP_2)
	v_add_f64 v[9:10], v[9:10], v[19:20]
	v_add_f64 v[11:12], v[11:12], v[13:14]
	global_store_b128 v[17:18], v[9:12], off
.LBB67_12:
	s_or_b32 exec_lo, exec_lo, s0
	v_or_b32_e32 v6, 1, v6
	s_delay_alu instid0(VALU_DEP_1)
	v_cmp_gt_i32_e32 vcc_lo, s9, v6
	s_and_b32 exec_lo, exec_lo, vcc_lo
	s_cbranch_execz .LBB67_14
; %bb.13:
	v_ashrrev_i32_e32 v7, 31, v6
	v_mul_lo_u32 v11, v6, s3
	v_mad_u64_u32 v[9:10], null, v6, s2, 0
	s_delay_alu instid0(VALU_DEP_3) | instskip(NEXT) | instid1(VALU_DEP_1)
	v_mul_lo_u32 v6, v7, s2
	v_add3_u32 v10, v10, v11, v6
	s_delay_alu instid0(VALU_DEP_1)
	v_lshlrev_b64 v[6:7], 4, v[9:10]
	ds_load_b128 v[9:12], v4 offset:16
	v_add_co_u32 v13, vcc_lo, v5, v6
	v_add_co_ci_u32_e32 v14, vcc_lo, v8, v7, vcc_lo
	global_load_b128 v[5:8], v[13:14], off
	s_waitcnt lgkmcnt(0)
	v_mul_f64 v[15:16], v[2:3], v[11:12]
	v_mul_f64 v[11:12], v[0:1], v[11:12]
	s_delay_alu instid0(VALU_DEP_2) | instskip(NEXT) | instid1(VALU_DEP_2)
	v_fma_f64 v[0:1], v[0:1], v[9:10], v[15:16]
	v_fma_f64 v[2:3], v[2:3], v[9:10], -v[11:12]
	s_waitcnt vmcnt(0)
	s_delay_alu instid0(VALU_DEP_2) | instskip(NEXT) | instid1(VALU_DEP_2)
	v_add_f64 v[0:1], v[5:6], v[0:1]
	v_add_f64 v[2:3], v[7:8], v[2:3]
	global_store_b128 v[13:14], v[0:3], off
.LBB67_14:
	s_nop 0
	s_sendmsg sendmsg(MSG_DEALLOC_VGPRS)
	s_endpgm
	.section	.rodata,"a",@progbits
	.p2align	6, 0x0
	.amdhsa_kernel _ZL18rocblas_ger_kernelILi32ELi32ELi2ELb1E19rocblas_complex_numIdES1_PKPKS1_PKPS1_EviiT4_lT5_lllSA_lllT6_lmli
		.amdhsa_group_segment_fixed_size 1536
		.amdhsa_private_segment_fixed_size 0
		.amdhsa_kernarg_size 132
		.amdhsa_user_sgpr_count 14
		.amdhsa_user_sgpr_dispatch_ptr 0
		.amdhsa_user_sgpr_queue_ptr 0
		.amdhsa_user_sgpr_kernarg_segment_ptr 1
		.amdhsa_user_sgpr_dispatch_id 0
		.amdhsa_user_sgpr_private_segment_size 0
		.amdhsa_wavefront_size32 1
		.amdhsa_uses_dynamic_stack 0
		.amdhsa_enable_private_segment 0
		.amdhsa_system_sgpr_workgroup_id_x 1
		.amdhsa_system_sgpr_workgroup_id_y 0
		.amdhsa_system_sgpr_workgroup_id_z 1
		.amdhsa_system_sgpr_workgroup_info 0
		.amdhsa_system_vgpr_workitem_id 1
		.amdhsa_next_free_vgpr 21
		.amdhsa_next_free_sgpr 24
		.amdhsa_reserve_vcc 1
		.amdhsa_float_round_mode_32 0
		.amdhsa_float_round_mode_16_64 0
		.amdhsa_float_denorm_mode_32 3
		.amdhsa_float_denorm_mode_16_64 3
		.amdhsa_dx10_clamp 1
		.amdhsa_ieee_mode 1
		.amdhsa_fp16_overflow 0
		.amdhsa_workgroup_processor_mode 1
		.amdhsa_memory_ordered 1
		.amdhsa_forward_progress 0
		.amdhsa_shared_vgpr_count 0
		.amdhsa_exception_fp_ieee_invalid_op 0
		.amdhsa_exception_fp_denorm_src 0
		.amdhsa_exception_fp_ieee_div_zero 0
		.amdhsa_exception_fp_ieee_overflow 0
		.amdhsa_exception_fp_ieee_underflow 0
		.amdhsa_exception_fp_ieee_inexact 0
		.amdhsa_exception_int_div_zero 0
	.end_amdhsa_kernel
	.section	.text._ZL18rocblas_ger_kernelILi32ELi32ELi2ELb1E19rocblas_complex_numIdES1_PKPKS1_PKPS1_EviiT4_lT5_lllSA_lllT6_lmli,"axG",@progbits,_ZL18rocblas_ger_kernelILi32ELi32ELi2ELb1E19rocblas_complex_numIdES1_PKPKS1_PKPS1_EviiT4_lT5_lllSA_lllT6_lmli,comdat
.Lfunc_end67:
	.size	_ZL18rocblas_ger_kernelILi32ELi32ELi2ELb1E19rocblas_complex_numIdES1_PKPKS1_PKPS1_EviiT4_lT5_lllSA_lllT6_lmli, .Lfunc_end67-_ZL18rocblas_ger_kernelILi32ELi32ELi2ELb1E19rocblas_complex_numIdES1_PKPKS1_PKPS1_EviiT4_lT5_lllSA_lllT6_lmli
                                        ; -- End function
	.section	.AMDGPU.csdata,"",@progbits
; Kernel info:
; codeLenInByte = 1164
; NumSgprs: 26
; NumVgprs: 21
; ScratchSize: 0
; MemoryBound: 0
; FloatMode: 240
; IeeeMode: 1
; LDSByteSize: 1536 bytes/workgroup (compile time only)
; SGPRBlocks: 3
; VGPRBlocks: 2
; NumSGPRsForWavesPerEU: 26
; NumVGPRsForWavesPerEU: 21
; Occupancy: 16
; WaveLimiterHint : 1
; COMPUTE_PGM_RSRC2:SCRATCH_EN: 0
; COMPUTE_PGM_RSRC2:USER_SGPR: 14
; COMPUTE_PGM_RSRC2:TRAP_HANDLER: 0
; COMPUTE_PGM_RSRC2:TGID_X_EN: 1
; COMPUTE_PGM_RSRC2:TGID_Y_EN: 0
; COMPUTE_PGM_RSRC2:TGID_Z_EN: 1
; COMPUTE_PGM_RSRC2:TIDIG_COMP_CNT: 1
	.text
	.p2alignl 7, 3214868480
	.fill 96, 4, 3214868480
	.type	__hip_cuid_c5bd9c5ebc72010,@object ; @__hip_cuid_c5bd9c5ebc72010
	.section	.bss,"aw",@nobits
	.globl	__hip_cuid_c5bd9c5ebc72010
__hip_cuid_c5bd9c5ebc72010:
	.byte	0                               ; 0x0
	.size	__hip_cuid_c5bd9c5ebc72010, 1

	.ident	"AMD clang version 19.0.0git (https://github.com/RadeonOpenCompute/llvm-project roc-6.4.0 25133 c7fe45cf4b819c5991fe208aaa96edf142730f1d)"
	.section	".note.GNU-stack","",@progbits
	.addrsig
	.addrsig_sym __hip_cuid_c5bd9c5ebc72010
	.amdgpu_metadata
---
amdhsa.kernels:
  - .args:
      - .offset:         0
        .size:           1
        .value_kind:     by_value
      - .offset:         4
        .size:           4
        .value_kind:     by_value
      - .offset:         8
        .size:           4
        .value_kind:     by_value
      - .offset:         16
        .size:           8
        .value_kind:     by_value
      - .offset:         24
        .size:           8
        .value_kind:     by_value
      - .actual_access:  read_only
        .address_space:  global
        .offset:         32
        .size:           8
        .value_kind:     global_buffer
      - .offset:         40
        .size:           8
        .value_kind:     by_value
      - .offset:         48
        .size:           8
        .value_kind:     by_value
      - .offset:         56
        .size:           8
        .value_kind:     by_value
      - .actual_access:  read_only
        .address_space:  global
        .offset:         64
        .size:           8
        .value_kind:     global_buffer
      - .offset:         72
        .size:           8
        .value_kind:     by_value
      - .offset:         80
        .size:           8
        .value_kind:     by_value
      - .offset:         88
        .size:           8
        .value_kind:     by_value
      - .address_space:  global
        .offset:         96
        .size:           8
        .value_kind:     global_buffer
      - .offset:         104
        .size:           8
        .value_kind:     by_value
      - .offset:         112
        .size:           8
        .value_kind:     by_value
      - .offset:         120
        .size:           8
        .value_kind:     by_value
      - .offset:         128
        .size:           4
        .value_kind:     by_value
    .group_segment_fixed_size: 0
    .kernarg_segment_align: 8
    .kernarg_segment_size: 132
    .language:       OpenCL C
    .language_version:
      - 2
      - 0
    .max_flat_workgroup_size: 1024
    .name:           _ZL34rocblas_ger_double_buffered_kernelILb0ELi128ELi8ELi8Ef24rocblas_internal_val_ptrIfEPKfPfEvbiiT4_lT5_lllS6_lllT6_lmli
    .private_segment_fixed_size: 0
    .sgpr_count:     31
    .sgpr_spill_count: 0
    .symbol:         _ZL34rocblas_ger_double_buffered_kernelILb0ELi128ELi8ELi8Ef24rocblas_internal_val_ptrIfEPKfPfEvbiiT4_lT5_lllS6_lllT6_lmli.kd
    .uniform_work_group_size: 1
    .uses_dynamic_stack: false
    .vgpr_count:     48
    .vgpr_spill_count: 0
    .wavefront_size: 32
    .workgroup_processor_mode: 1
  - .args:
      - .offset:         0
        .size:           4
        .value_kind:     by_value
      - .offset:         4
        .size:           4
        .value_kind:     by_value
      - .address_space:  global
        .offset:         8
        .size:           8
        .value_kind:     global_buffer
      - .offset:         16
        .size:           8
        .value_kind:     by_value
      - .address_space:  global
        .offset:         24
        .size:           8
        .value_kind:     global_buffer
      - .offset:         32
        .size:           8
        .value_kind:     by_value
      - .offset:         40
        .size:           8
        .value_kind:     by_value
      - .offset:         48
        .size:           8
        .value_kind:     by_value
      - .address_space:  global
        .offset:         56
        .size:           8
        .value_kind:     global_buffer
      - .offset:         64
        .size:           8
        .value_kind:     by_value
      - .offset:         72
        .size:           8
        .value_kind:     by_value
      - .offset:         80
        .size:           8
        .value_kind:     by_value
      - .address_space:  global
        .offset:         88
        .size:           8
        .value_kind:     global_buffer
      - .offset:         96
        .size:           8
        .value_kind:     by_value
      - .offset:         104
        .size:           8
        .value_kind:     by_value
      - .offset:         112
        .size:           8
        .value_kind:     by_value
    .group_segment_fixed_size: 0
    .kernarg_segment_align: 8
    .kernarg_segment_size: 120
    .language:       OpenCL C
    .language_version:
      - 2
      - 0
    .max_flat_workgroup_size: 256
    .name:           _ZL26rocblas_sger_gfx942_kernelILi256EfPKfS1_PfEviiT1_lT2_lllS4_lllT3_lll
    .private_segment_fixed_size: 0
    .sgpr_count:     0
    .sgpr_spill_count: 0
    .symbol:         _ZL26rocblas_sger_gfx942_kernelILi256EfPKfS1_PfEviiT1_lT2_lllS4_lllT3_lll.kd
    .uniform_work_group_size: 1
    .uses_dynamic_stack: false
    .vgpr_count:     0
    .vgpr_spill_count: 0
    .wavefront_size: 32
    .workgroup_processor_mode: 1
  - .args:
      - .offset:         0
        .size:           4
        .value_kind:     by_value
      - .offset:         4
        .size:           4
        .value_kind:     by_value
      - .offset:         8
        .size:           4
        .value_kind:     by_value
      - .offset:         16
        .size:           8
        .value_kind:     by_value
      - .address_space:  global
        .offset:         24
        .size:           8
        .value_kind:     global_buffer
      - .offset:         32
        .size:           8
        .value_kind:     by_value
      - .offset:         40
        .size:           8
        .value_kind:     by_value
      - .offset:         48
        .size:           8
        .value_kind:     by_value
      - .address_space:  global
        .offset:         56
        .size:           8
        .value_kind:     global_buffer
      - .offset:         64
        .size:           8
        .value_kind:     by_value
      - .offset:         72
        .size:           8
        .value_kind:     by_value
      - .offset:         80
        .size:           8
        .value_kind:     by_value
      - .address_space:  global
        .offset:         88
        .size:           8
        .value_kind:     global_buffer
      - .offset:         96
        .size:           8
        .value_kind:     by_value
      - .offset:         104
        .size:           8
        .value_kind:     by_value
      - .offset:         112
        .size:           8
        .value_kind:     by_value
    .group_segment_fixed_size: 0
    .kernarg_segment_align: 8
    .kernarg_segment_size: 120
    .language:       OpenCL C
    .language_version:
      - 2
      - 0
    .max_flat_workgroup_size: 256
    .name:           _ZL26rocblas_sger_gfx942_kernelILi256EffPKfPfEviiT1_lT2_lllS4_lllT3_lll
    .private_segment_fixed_size: 0
    .sgpr_count:     0
    .sgpr_spill_count: 0
    .symbol:         _ZL26rocblas_sger_gfx942_kernelILi256EffPKfPfEviiT1_lT2_lllS4_lllT3_lll.kd
    .uniform_work_group_size: 1
    .uses_dynamic_stack: false
    .vgpr_count:     0
    .vgpr_spill_count: 0
    .wavefront_size: 32
    .workgroup_processor_mode: 1
  - .args:
      - .offset:         0
        .size:           4
        .value_kind:     by_value
      - .offset:         4
        .size:           4
        .value_kind:     by_value
      - .address_space:  global
        .offset:         8
        .size:           8
        .value_kind:     global_buffer
      - .offset:         16
        .size:           8
        .value_kind:     by_value
      - .actual_access:  read_only
        .address_space:  global
        .offset:         24
        .size:           8
        .value_kind:     global_buffer
      - .offset:         32
        .size:           8
        .value_kind:     by_value
      - .offset:         40
        .size:           8
        .value_kind:     by_value
      - .offset:         48
        .size:           8
        .value_kind:     by_value
      - .actual_access:  read_only
        .address_space:  global
        .offset:         56
        .size:           8
        .value_kind:     global_buffer
      - .offset:         64
        .size:           8
        .value_kind:     by_value
      - .offset:         72
        .size:           8
        .value_kind:     by_value
      - .offset:         80
        .size:           8
        .value_kind:     by_value
      - .address_space:  global
        .offset:         88
        .size:           8
        .value_kind:     global_buffer
      - .offset:         96
        .size:           8
        .value_kind:     by_value
      - .offset:         104
        .size:           8
        .value_kind:     by_value
      - .offset:         112
        .size:           8
        .value_kind:     by_value
      - .offset:         120
        .size:           4
        .value_kind:     by_value
    .group_segment_fixed_size: 0
    .kernarg_segment_align: 8
    .kernarg_segment_size: 124
    .language:       OpenCL C
    .language_version:
      - 2
      - 0
    .max_flat_workgroup_size: 1024
    .name:           _ZL19rocblas_sger_kernelILi1024EfPKfS1_PfEviiT1_lT2_lllS4_lllT3_lmli
    .private_segment_fixed_size: 0
    .sgpr_count:     33
    .sgpr_spill_count: 0
    .symbol:         _ZL19rocblas_sger_kernelILi1024EfPKfS1_PfEviiT1_lT2_lllS4_lllT3_lmli.kd
    .uniform_work_group_size: 1
    .uses_dynamic_stack: false
    .vgpr_count:     8
    .vgpr_spill_count: 0
    .wavefront_size: 32
    .workgroup_processor_mode: 1
  - .args:
      - .offset:         0
        .size:           4
        .value_kind:     by_value
      - .offset:         4
        .size:           4
        .value_kind:     by_value
      - .offset:         8
        .size:           4
        .value_kind:     by_value
      - .offset:         16
        .size:           8
        .value_kind:     by_value
      - .actual_access:  read_only
        .address_space:  global
        .offset:         24
        .size:           8
        .value_kind:     global_buffer
      - .offset:         32
        .size:           8
        .value_kind:     by_value
      - .offset:         40
        .size:           8
        .value_kind:     by_value
      - .offset:         48
        .size:           8
        .value_kind:     by_value
      - .actual_access:  read_only
        .address_space:  global
        .offset:         56
        .size:           8
        .value_kind:     global_buffer
      - .offset:         64
        .size:           8
        .value_kind:     by_value
      - .offset:         72
        .size:           8
        .value_kind:     by_value
      - .offset:         80
        .size:           8
        .value_kind:     by_value
      - .address_space:  global
        .offset:         88
        .size:           8
        .value_kind:     global_buffer
      - .offset:         96
        .size:           8
        .value_kind:     by_value
      - .offset:         104
        .size:           8
        .value_kind:     by_value
      - .offset:         112
        .size:           8
        .value_kind:     by_value
      - .offset:         120
        .size:           4
        .value_kind:     by_value
    .group_segment_fixed_size: 0
    .kernarg_segment_align: 8
    .kernarg_segment_size: 124
    .language:       OpenCL C
    .language_version:
      - 2
      - 0
    .max_flat_workgroup_size: 1024
    .name:           _ZL19rocblas_sger_kernelILi1024EffPKfPfEviiT1_lT2_lllS4_lllT3_lmli
    .private_segment_fixed_size: 0
    .sgpr_count:     33
    .sgpr_spill_count: 0
    .symbol:         _ZL19rocblas_sger_kernelILi1024EffPKfPfEviiT1_lT2_lllS4_lllT3_lmli.kd
    .uniform_work_group_size: 1
    .uses_dynamic_stack: false
    .vgpr_count:     8
    .vgpr_spill_count: 0
    .wavefront_size: 32
    .workgroup_processor_mode: 1
  - .args:
      - .offset:         0
        .size:           4
        .value_kind:     by_value
      - .offset:         4
        .size:           4
        .value_kind:     by_value
      - .address_space:  global
        .offset:         8
        .size:           8
        .value_kind:     global_buffer
      - .offset:         16
        .size:           8
        .value_kind:     by_value
      - .actual_access:  read_only
        .address_space:  global
        .offset:         24
        .size:           8
        .value_kind:     global_buffer
      - .offset:         32
        .size:           8
        .value_kind:     by_value
      - .offset:         40
        .size:           8
        .value_kind:     by_value
      - .offset:         48
        .size:           8
        .value_kind:     by_value
      - .actual_access:  read_only
        .address_space:  global
        .offset:         56
        .size:           8
        .value_kind:     global_buffer
      - .offset:         64
        .size:           8
        .value_kind:     by_value
      - .offset:         72
        .size:           8
        .value_kind:     by_value
      - .offset:         80
        .size:           8
        .value_kind:     by_value
      - .address_space:  global
        .offset:         88
        .size:           8
        .value_kind:     global_buffer
      - .offset:         96
        .size:           8
        .value_kind:     by_value
      - .offset:         104
        .size:           8
        .value_kind:     by_value
      - .offset:         112
        .size:           8
        .value_kind:     by_value
      - .offset:         120
        .size:           4
        .value_kind:     by_value
    .group_segment_fixed_size: 384
    .kernarg_segment_align: 8
    .kernarg_segment_size: 124
    .language:       OpenCL C
    .language_version:
      - 2
      - 0
    .max_flat_workgroup_size: 1024
    .name:           _ZL18rocblas_ger_kernelILi32ELi32ELi2ELb0EfPKfS1_PfEviiT4_lT5_lllS4_lllT6_lmli
    .private_segment_fixed_size: 0
    .sgpr_count:     24
    .sgpr_spill_count: 0
    .symbol:         _ZL18rocblas_ger_kernelILi32ELi32ELi2ELb0EfPKfS1_PfEviiT4_lT5_lllS4_lllT6_lmli.kd
    .uniform_work_group_size: 1
    .uses_dynamic_stack: false
    .vgpr_count:     9
    .vgpr_spill_count: 0
    .wavefront_size: 32
    .workgroup_processor_mode: 1
  - .args:
      - .offset:         0
        .size:           4
        .value_kind:     by_value
      - .offset:         4
        .size:           4
        .value_kind:     by_value
      - .offset:         8
        .size:           4
        .value_kind:     by_value
      - .offset:         16
        .size:           8
        .value_kind:     by_value
      - .actual_access:  read_only
        .address_space:  global
        .offset:         24
        .size:           8
        .value_kind:     global_buffer
      - .offset:         32
        .size:           8
        .value_kind:     by_value
      - .offset:         40
        .size:           8
        .value_kind:     by_value
      - .offset:         48
        .size:           8
        .value_kind:     by_value
      - .actual_access:  read_only
        .address_space:  global
        .offset:         56
        .size:           8
        .value_kind:     global_buffer
      - .offset:         64
        .size:           8
        .value_kind:     by_value
      - .offset:         72
        .size:           8
        .value_kind:     by_value
      - .offset:         80
        .size:           8
        .value_kind:     by_value
      - .address_space:  global
        .offset:         88
        .size:           8
        .value_kind:     global_buffer
      - .offset:         96
        .size:           8
        .value_kind:     by_value
      - .offset:         104
        .size:           8
        .value_kind:     by_value
      - .offset:         112
        .size:           8
        .value_kind:     by_value
      - .offset:         120
        .size:           4
        .value_kind:     by_value
    .group_segment_fixed_size: 384
    .kernarg_segment_align: 8
    .kernarg_segment_size: 124
    .language:       OpenCL C
    .language_version:
      - 2
      - 0
    .max_flat_workgroup_size: 1024
    .name:           _ZL18rocblas_ger_kernelILi32ELi32ELi2ELb0EffPKfPfEviiT4_lT5_lllS4_lllT6_lmli
    .private_segment_fixed_size: 0
    .sgpr_count:     24
    .sgpr_spill_count: 0
    .symbol:         _ZL18rocblas_ger_kernelILi32ELi32ELi2ELb0EffPKfPfEviiT4_lT5_lllS4_lllT6_lmli.kd
    .uniform_work_group_size: 1
    .uses_dynamic_stack: false
    .vgpr_count:     9
    .vgpr_spill_count: 0
    .wavefront_size: 32
    .workgroup_processor_mode: 1
  - .args:
      - .offset:         0
        .size:           1
        .value_kind:     by_value
      - .offset:         4
        .size:           4
        .value_kind:     by_value
      - .offset:         8
        .size:           4
        .value_kind:     by_value
      - .offset:         16
        .size:           8
        .value_kind:     by_value
      - .offset:         24
        .size:           8
        .value_kind:     by_value
      - .actual_access:  read_only
        .address_space:  global
        .offset:         32
        .size:           8
        .value_kind:     global_buffer
      - .offset:         40
        .size:           8
        .value_kind:     by_value
      - .offset:         48
        .size:           8
        .value_kind:     by_value
      - .offset:         56
        .size:           8
        .value_kind:     by_value
      - .actual_access:  read_only
        .address_space:  global
        .offset:         64
        .size:           8
        .value_kind:     global_buffer
      - .offset:         72
        .size:           8
        .value_kind:     by_value
      - .offset:         80
        .size:           8
        .value_kind:     by_value
      - .offset:         88
        .size:           8
        .value_kind:     by_value
      - .address_space:  global
        .offset:         96
        .size:           8
        .value_kind:     global_buffer
      - .offset:         104
        .size:           8
        .value_kind:     by_value
      - .offset:         112
        .size:           8
        .value_kind:     by_value
      - .offset:         120
        .size:           8
        .value_kind:     by_value
      - .offset:         128
        .size:           4
        .value_kind:     by_value
    .group_segment_fixed_size: 0
    .kernarg_segment_align: 8
    .kernarg_segment_size: 132
    .language:       OpenCL C
    .language_version:
      - 2
      - 0
    .max_flat_workgroup_size: 1024
    .name:           _ZL34rocblas_ger_double_buffered_kernelILb0ELi64ELi16ELi2Ed24rocblas_internal_val_ptrIdEPKdPdEvbiiT4_lT5_lllS6_lllT6_lmli
    .private_segment_fixed_size: 0
    .sgpr_count:     30
    .sgpr_spill_count: 0
    .symbol:         _ZL34rocblas_ger_double_buffered_kernelILb0ELi64ELi16ELi2Ed24rocblas_internal_val_ptrIdEPKdPdEvbiiT4_lT5_lllS6_lllT6_lmli.kd
    .uniform_work_group_size: 1
    .uses_dynamic_stack: false
    .vgpr_count:     23
    .vgpr_spill_count: 0
    .wavefront_size: 32
    .workgroup_processor_mode: 1
  - .args:
      - .offset:         0
        .size:           4
        .value_kind:     by_value
      - .offset:         4
        .size:           4
        .value_kind:     by_value
      - .address_space:  global
        .offset:         8
        .size:           8
        .value_kind:     global_buffer
      - .offset:         16
        .size:           8
        .value_kind:     by_value
      - .address_space:  global
        .offset:         24
        .size:           8
        .value_kind:     global_buffer
      - .offset:         32
        .size:           8
        .value_kind:     by_value
      - .offset:         40
        .size:           8
        .value_kind:     by_value
      - .offset:         48
        .size:           8
        .value_kind:     by_value
      - .address_space:  global
        .offset:         56
        .size:           8
        .value_kind:     global_buffer
      - .offset:         64
        .size:           8
        .value_kind:     by_value
      - .offset:         72
        .size:           8
        .value_kind:     by_value
      - .offset:         80
        .size:           8
        .value_kind:     by_value
      - .address_space:  global
        .offset:         88
        .size:           8
        .value_kind:     global_buffer
      - .offset:         96
        .size:           8
        .value_kind:     by_value
      - .offset:         104
        .size:           8
        .value_kind:     by_value
      - .offset:         112
        .size:           8
        .value_kind:     by_value
    .group_segment_fixed_size: 0
    .kernarg_segment_align: 8
    .kernarg_segment_size: 120
    .language:       OpenCL C
    .language_version:
      - 2
      - 0
    .max_flat_workgroup_size: 256
    .name:           _ZL26rocblas_sger_gfx942_kernelILi256EdPKdS1_PdEviiT1_lT2_lllS4_lllT3_lll
    .private_segment_fixed_size: 0
    .sgpr_count:     0
    .sgpr_spill_count: 0
    .symbol:         _ZL26rocblas_sger_gfx942_kernelILi256EdPKdS1_PdEviiT1_lT2_lllS4_lllT3_lll.kd
    .uniform_work_group_size: 1
    .uses_dynamic_stack: false
    .vgpr_count:     0
    .vgpr_spill_count: 0
    .wavefront_size: 32
    .workgroup_processor_mode: 1
  - .args:
      - .offset:         0
        .size:           4
        .value_kind:     by_value
      - .offset:         4
        .size:           4
        .value_kind:     by_value
      - .offset:         8
        .size:           8
        .value_kind:     by_value
      - .offset:         16
        .size:           8
        .value_kind:     by_value
      - .address_space:  global
        .offset:         24
        .size:           8
        .value_kind:     global_buffer
      - .offset:         32
        .size:           8
        .value_kind:     by_value
      - .offset:         40
        .size:           8
        .value_kind:     by_value
      - .offset:         48
        .size:           8
        .value_kind:     by_value
      - .address_space:  global
        .offset:         56
        .size:           8
        .value_kind:     global_buffer
      - .offset:         64
        .size:           8
        .value_kind:     by_value
      - .offset:         72
        .size:           8
        .value_kind:     by_value
      - .offset:         80
        .size:           8
        .value_kind:     by_value
      - .address_space:  global
        .offset:         88
        .size:           8
        .value_kind:     global_buffer
      - .offset:         96
        .size:           8
        .value_kind:     by_value
      - .offset:         104
        .size:           8
        .value_kind:     by_value
      - .offset:         112
        .size:           8
        .value_kind:     by_value
    .group_segment_fixed_size: 0
    .kernarg_segment_align: 8
    .kernarg_segment_size: 120
    .language:       OpenCL C
    .language_version:
      - 2
      - 0
    .max_flat_workgroup_size: 256
    .name:           _ZL26rocblas_sger_gfx942_kernelILi256EddPKdPdEviiT1_lT2_lllS4_lllT3_lll
    .private_segment_fixed_size: 0
    .sgpr_count:     0
    .sgpr_spill_count: 0
    .symbol:         _ZL26rocblas_sger_gfx942_kernelILi256EddPKdPdEviiT1_lT2_lllS4_lllT3_lll.kd
    .uniform_work_group_size: 1
    .uses_dynamic_stack: false
    .vgpr_count:     0
    .vgpr_spill_count: 0
    .wavefront_size: 32
    .workgroup_processor_mode: 1
  - .args:
      - .offset:         0
        .size:           4
        .value_kind:     by_value
      - .offset:         4
        .size:           4
        .value_kind:     by_value
      - .address_space:  global
        .offset:         8
        .size:           8
        .value_kind:     global_buffer
      - .offset:         16
        .size:           8
        .value_kind:     by_value
      - .actual_access:  read_only
        .address_space:  global
        .offset:         24
        .size:           8
        .value_kind:     global_buffer
      - .offset:         32
        .size:           8
        .value_kind:     by_value
      - .offset:         40
        .size:           8
        .value_kind:     by_value
      - .offset:         48
        .size:           8
        .value_kind:     by_value
      - .actual_access:  read_only
        .address_space:  global
        .offset:         56
        .size:           8
        .value_kind:     global_buffer
      - .offset:         64
        .size:           8
        .value_kind:     by_value
      - .offset:         72
        .size:           8
        .value_kind:     by_value
      - .offset:         80
        .size:           8
        .value_kind:     by_value
      - .address_space:  global
        .offset:         88
        .size:           8
        .value_kind:     global_buffer
      - .offset:         96
        .size:           8
        .value_kind:     by_value
      - .offset:         104
        .size:           8
        .value_kind:     by_value
      - .offset:         112
        .size:           8
        .value_kind:     by_value
      - .offset:         120
        .size:           4
        .value_kind:     by_value
    .group_segment_fixed_size: 0
    .kernarg_segment_align: 8
    .kernarg_segment_size: 124
    .language:       OpenCL C
    .language_version:
      - 2
      - 0
    .max_flat_workgroup_size: 1024
    .name:           _ZL19rocblas_sger_kernelILi1024EdPKdS1_PdEviiT1_lT2_lllS4_lllT3_lmli
    .private_segment_fixed_size: 0
    .sgpr_count:     28
    .sgpr_spill_count: 0
    .symbol:         _ZL19rocblas_sger_kernelILi1024EdPKdS1_PdEviiT1_lT2_lllS4_lllT3_lmli.kd
    .uniform_work_group_size: 1
    .uses_dynamic_stack: false
    .vgpr_count:     11
    .vgpr_spill_count: 0
    .wavefront_size: 32
    .workgroup_processor_mode: 1
  - .args:
      - .offset:         0
        .size:           4
        .value_kind:     by_value
      - .offset:         4
        .size:           4
        .value_kind:     by_value
      - .offset:         8
        .size:           8
        .value_kind:     by_value
      - .offset:         16
        .size:           8
        .value_kind:     by_value
      - .actual_access:  read_only
        .address_space:  global
        .offset:         24
        .size:           8
        .value_kind:     global_buffer
      - .offset:         32
        .size:           8
        .value_kind:     by_value
      - .offset:         40
        .size:           8
        .value_kind:     by_value
      - .offset:         48
        .size:           8
        .value_kind:     by_value
      - .actual_access:  read_only
        .address_space:  global
        .offset:         56
        .size:           8
        .value_kind:     global_buffer
      - .offset:         64
        .size:           8
        .value_kind:     by_value
      - .offset:         72
        .size:           8
        .value_kind:     by_value
      - .offset:         80
        .size:           8
        .value_kind:     by_value
      - .address_space:  global
        .offset:         88
        .size:           8
        .value_kind:     global_buffer
      - .offset:         96
        .size:           8
        .value_kind:     by_value
      - .offset:         104
        .size:           8
        .value_kind:     by_value
      - .offset:         112
        .size:           8
        .value_kind:     by_value
      - .offset:         120
        .size:           4
        .value_kind:     by_value
    .group_segment_fixed_size: 0
    .kernarg_segment_align: 8
    .kernarg_segment_size: 124
    .language:       OpenCL C
    .language_version:
      - 2
      - 0
    .max_flat_workgroup_size: 1024
    .name:           _ZL19rocblas_sger_kernelILi1024EddPKdPdEviiT1_lT2_lllS4_lllT3_lmli
    .private_segment_fixed_size: 0
    .sgpr_count:     28
    .sgpr_spill_count: 0
    .symbol:         _ZL19rocblas_sger_kernelILi1024EddPKdPdEviiT1_lT2_lllS4_lllT3_lmli.kd
    .uniform_work_group_size: 1
    .uses_dynamic_stack: false
    .vgpr_count:     11
    .vgpr_spill_count: 0
    .wavefront_size: 32
    .workgroup_processor_mode: 1
  - .args:
      - .offset:         0
        .size:           4
        .value_kind:     by_value
      - .offset:         4
        .size:           4
        .value_kind:     by_value
      - .address_space:  global
        .offset:         8
        .size:           8
        .value_kind:     global_buffer
      - .offset:         16
        .size:           8
        .value_kind:     by_value
      - .actual_access:  read_only
        .address_space:  global
        .offset:         24
        .size:           8
        .value_kind:     global_buffer
      - .offset:         32
        .size:           8
        .value_kind:     by_value
      - .offset:         40
        .size:           8
        .value_kind:     by_value
      - .offset:         48
        .size:           8
        .value_kind:     by_value
      - .actual_access:  read_only
        .address_space:  global
        .offset:         56
        .size:           8
        .value_kind:     global_buffer
      - .offset:         64
        .size:           8
        .value_kind:     by_value
      - .offset:         72
        .size:           8
        .value_kind:     by_value
      - .offset:         80
        .size:           8
        .value_kind:     by_value
      - .address_space:  global
        .offset:         88
        .size:           8
        .value_kind:     global_buffer
      - .offset:         96
        .size:           8
        .value_kind:     by_value
      - .offset:         104
        .size:           8
        .value_kind:     by_value
      - .offset:         112
        .size:           8
        .value_kind:     by_value
      - .offset:         120
        .size:           4
        .value_kind:     by_value
    .group_segment_fixed_size: 768
    .kernarg_segment_align: 8
    .kernarg_segment_size: 124
    .language:       OpenCL C
    .language_version:
      - 2
      - 0
    .max_flat_workgroup_size: 1024
    .name:           _ZL18rocblas_ger_kernelILi32ELi32ELi2ELb0EdPKdS1_PdEviiT4_lT5_lllS4_lllT6_lmli
    .private_segment_fixed_size: 0
    .sgpr_count:     26
    .sgpr_spill_count: 0
    .symbol:         _ZL18rocblas_ger_kernelILi32ELi32ELi2ELb0EdPKdS1_PdEviiT4_lT5_lllS4_lllT6_lmli.kd
    .uniform_work_group_size: 1
    .uses_dynamic_stack: false
    .vgpr_count:     13
    .vgpr_spill_count: 0
    .wavefront_size: 32
    .workgroup_processor_mode: 1
  - .args:
      - .offset:         0
        .size:           4
        .value_kind:     by_value
      - .offset:         4
        .size:           4
        .value_kind:     by_value
      - .offset:         8
        .size:           8
        .value_kind:     by_value
      - .offset:         16
        .size:           8
        .value_kind:     by_value
      - .actual_access:  read_only
        .address_space:  global
        .offset:         24
        .size:           8
        .value_kind:     global_buffer
      - .offset:         32
        .size:           8
        .value_kind:     by_value
      - .offset:         40
        .size:           8
        .value_kind:     by_value
      - .offset:         48
        .size:           8
        .value_kind:     by_value
      - .actual_access:  read_only
        .address_space:  global
        .offset:         56
        .size:           8
        .value_kind:     global_buffer
      - .offset:         64
        .size:           8
        .value_kind:     by_value
      - .offset:         72
        .size:           8
        .value_kind:     by_value
      - .offset:         80
        .size:           8
        .value_kind:     by_value
      - .address_space:  global
        .offset:         88
        .size:           8
        .value_kind:     global_buffer
      - .offset:         96
        .size:           8
        .value_kind:     by_value
      - .offset:         104
        .size:           8
        .value_kind:     by_value
      - .offset:         112
        .size:           8
        .value_kind:     by_value
      - .offset:         120
        .size:           4
        .value_kind:     by_value
    .group_segment_fixed_size: 768
    .kernarg_segment_align: 8
    .kernarg_segment_size: 124
    .language:       OpenCL C
    .language_version:
      - 2
      - 0
    .max_flat_workgroup_size: 1024
    .name:           _ZL18rocblas_ger_kernelILi32ELi32ELi2ELb0EddPKdPdEviiT4_lT5_lllS4_lllT6_lmli
    .private_segment_fixed_size: 0
    .sgpr_count:     26
    .sgpr_spill_count: 0
    .symbol:         _ZL18rocblas_ger_kernelILi32ELi32ELi2ELb0EddPKdPdEviiT4_lT5_lllS4_lllT6_lmli.kd
    .uniform_work_group_size: 1
    .uses_dynamic_stack: false
    .vgpr_count:     13
    .vgpr_spill_count: 0
    .wavefront_size: 32
    .workgroup_processor_mode: 1
  - .args:
      - .offset:         0
        .size:           1
        .value_kind:     by_value
      - .offset:         4
        .size:           4
        .value_kind:     by_value
      - .offset:         8
        .size:           4
        .value_kind:     by_value
      - .offset:         16
        .size:           8
        .value_kind:     by_value
      - .offset:         24
        .size:           8
        .value_kind:     by_value
      - .actual_access:  read_only
        .address_space:  global
        .offset:         32
        .size:           8
        .value_kind:     global_buffer
      - .offset:         40
        .size:           8
        .value_kind:     by_value
      - .offset:         48
        .size:           8
        .value_kind:     by_value
      - .offset:         56
        .size:           8
        .value_kind:     by_value
      - .actual_access:  read_only
        .address_space:  global
        .offset:         64
        .size:           8
        .value_kind:     global_buffer
      - .offset:         72
        .size:           8
        .value_kind:     by_value
      - .offset:         80
        .size:           8
        .value_kind:     by_value
      - .offset:         88
        .size:           8
        .value_kind:     by_value
      - .address_space:  global
        .offset:         96
        .size:           8
        .value_kind:     global_buffer
      - .offset:         104
        .size:           8
        .value_kind:     by_value
      - .offset:         112
        .size:           8
        .value_kind:     by_value
      - .offset:         120
        .size:           8
        .value_kind:     by_value
      - .offset:         128
        .size:           4
        .value_kind:     by_value
    .group_segment_fixed_size: 0
    .kernarg_segment_align: 8
    .kernarg_segment_size: 132
    .language:       OpenCL C
    .language_version:
      - 2
      - 0
    .max_flat_workgroup_size: 1024
    .name:           _ZL34rocblas_ger_double_buffered_kernelILb0ELi64ELi16ELi2E19rocblas_complex_numIfE24rocblas_internal_val_ptrIS1_EPKS1_PS1_EvbiiT4_lT5_lllS8_lllT6_lmli
    .private_segment_fixed_size: 0
    .sgpr_count:     34
    .sgpr_spill_count: 0
    .symbol:         _ZL34rocblas_ger_double_buffered_kernelILb0ELi64ELi16ELi2E19rocblas_complex_numIfE24rocblas_internal_val_ptrIS1_EPKS1_PS1_EvbiiT4_lT5_lllS8_lllT6_lmli.kd
    .uniform_work_group_size: 1
    .uses_dynamic_stack: false
    .vgpr_count:     26
    .vgpr_spill_count: 0
    .wavefront_size: 32
    .workgroup_processor_mode: 1
  - .args:
      - .offset:         0
        .size:           4
        .value_kind:     by_value
      - .offset:         4
        .size:           4
        .value_kind:     by_value
      - .address_space:  global
        .offset:         8
        .size:           8
        .value_kind:     global_buffer
      - .offset:         16
        .size:           8
        .value_kind:     by_value
      - .address_space:  global
        .offset:         24
        .size:           8
        .value_kind:     global_buffer
      - .offset:         32
        .size:           8
        .value_kind:     by_value
      - .offset:         40
        .size:           8
        .value_kind:     by_value
      - .offset:         48
        .size:           8
        .value_kind:     by_value
      - .address_space:  global
        .offset:         56
        .size:           8
        .value_kind:     global_buffer
      - .offset:         64
        .size:           8
        .value_kind:     by_value
      - .offset:         72
        .size:           8
        .value_kind:     by_value
      - .offset:         80
        .size:           8
        .value_kind:     by_value
      - .address_space:  global
        .offset:         88
        .size:           8
        .value_kind:     global_buffer
      - .offset:         96
        .size:           8
        .value_kind:     by_value
      - .offset:         104
        .size:           8
        .value_kind:     by_value
      - .offset:         112
        .size:           8
        .value_kind:     by_value
    .group_segment_fixed_size: 0
    .kernarg_segment_align: 8
    .kernarg_segment_size: 120
    .language:       OpenCL C
    .language_version:
      - 2
      - 0
    .max_flat_workgroup_size: 256
    .name:           _ZL26rocblas_sger_gfx942_kernelILi256E19rocblas_complex_numIfEPKS1_S3_PS1_EviiT1_lT2_lllS6_lllT3_lll
    .private_segment_fixed_size: 0
    .sgpr_count:     0
    .sgpr_spill_count: 0
    .symbol:         _ZL26rocblas_sger_gfx942_kernelILi256E19rocblas_complex_numIfEPKS1_S3_PS1_EviiT1_lT2_lllS6_lllT3_lll.kd
    .uniform_work_group_size: 1
    .uses_dynamic_stack: false
    .vgpr_count:     0
    .vgpr_spill_count: 0
    .wavefront_size: 32
    .workgroup_processor_mode: 1
  - .args:
      - .offset:         0
        .size:           4
        .value_kind:     by_value
      - .offset:         4
        .size:           4
        .value_kind:     by_value
      - .offset:         8
        .size:           8
        .value_kind:     by_value
      - .offset:         16
        .size:           8
        .value_kind:     by_value
      - .address_space:  global
        .offset:         24
        .size:           8
        .value_kind:     global_buffer
      - .offset:         32
        .size:           8
        .value_kind:     by_value
      - .offset:         40
        .size:           8
        .value_kind:     by_value
      - .offset:         48
        .size:           8
        .value_kind:     by_value
      - .address_space:  global
        .offset:         56
        .size:           8
        .value_kind:     global_buffer
      - .offset:         64
        .size:           8
        .value_kind:     by_value
      - .offset:         72
        .size:           8
        .value_kind:     by_value
      - .offset:         80
        .size:           8
        .value_kind:     by_value
      - .address_space:  global
        .offset:         88
        .size:           8
        .value_kind:     global_buffer
      - .offset:         96
        .size:           8
        .value_kind:     by_value
      - .offset:         104
        .size:           8
        .value_kind:     by_value
      - .offset:         112
        .size:           8
        .value_kind:     by_value
    .group_segment_fixed_size: 0
    .kernarg_segment_align: 8
    .kernarg_segment_size: 120
    .language:       OpenCL C
    .language_version:
      - 2
      - 0
    .max_flat_workgroup_size: 256
    .name:           _ZL26rocblas_sger_gfx942_kernelILi256E19rocblas_complex_numIfES1_PKS1_PS1_EviiT1_lT2_lllS6_lllT3_lll
    .private_segment_fixed_size: 0
    .sgpr_count:     0
    .sgpr_spill_count: 0
    .symbol:         _ZL26rocblas_sger_gfx942_kernelILi256E19rocblas_complex_numIfES1_PKS1_PS1_EviiT1_lT2_lllS6_lllT3_lll.kd
    .uniform_work_group_size: 1
    .uses_dynamic_stack: false
    .vgpr_count:     0
    .vgpr_spill_count: 0
    .wavefront_size: 32
    .workgroup_processor_mode: 1
  - .args:
      - .offset:         0
        .size:           4
        .value_kind:     by_value
      - .offset:         4
        .size:           4
        .value_kind:     by_value
      - .address_space:  global
        .offset:         8
        .size:           8
        .value_kind:     global_buffer
      - .offset:         16
        .size:           8
        .value_kind:     by_value
      - .actual_access:  read_only
        .address_space:  global
        .offset:         24
        .size:           8
        .value_kind:     global_buffer
      - .offset:         32
        .size:           8
        .value_kind:     by_value
      - .offset:         40
        .size:           8
        .value_kind:     by_value
      - .offset:         48
        .size:           8
        .value_kind:     by_value
      - .actual_access:  read_only
        .address_space:  global
        .offset:         56
        .size:           8
        .value_kind:     global_buffer
      - .offset:         64
        .size:           8
        .value_kind:     by_value
      - .offset:         72
        .size:           8
        .value_kind:     by_value
      - .offset:         80
        .size:           8
        .value_kind:     by_value
      - .address_space:  global
        .offset:         88
        .size:           8
        .value_kind:     global_buffer
      - .offset:         96
        .size:           8
        .value_kind:     by_value
      - .offset:         104
        .size:           8
        .value_kind:     by_value
      - .offset:         112
        .size:           8
        .value_kind:     by_value
      - .offset:         120
        .size:           4
        .value_kind:     by_value
    .group_segment_fixed_size: 0
    .kernarg_segment_align: 8
    .kernarg_segment_size: 124
    .language:       OpenCL C
    .language_version:
      - 2
      - 0
    .max_flat_workgroup_size: 1024
    .name:           _ZL19rocblas_sger_kernelILi1024E19rocblas_complex_numIfEPKS1_S3_PS1_EviiT1_lT2_lllS6_lllT3_lmli
    .private_segment_fixed_size: 0
    .sgpr_count:     38
    .sgpr_spill_count: 0
    .symbol:         _ZL19rocblas_sger_kernelILi1024E19rocblas_complex_numIfEPKS1_S3_PS1_EviiT1_lT2_lllS6_lllT3_lmli.kd
    .uniform_work_group_size: 1
    .uses_dynamic_stack: false
    .vgpr_count:     12
    .vgpr_spill_count: 0
    .wavefront_size: 32
    .workgroup_processor_mode: 1
  - .args:
      - .offset:         0
        .size:           4
        .value_kind:     by_value
      - .offset:         4
        .size:           4
        .value_kind:     by_value
      - .offset:         8
        .size:           8
        .value_kind:     by_value
      - .offset:         16
        .size:           8
        .value_kind:     by_value
      - .actual_access:  read_only
        .address_space:  global
        .offset:         24
        .size:           8
        .value_kind:     global_buffer
      - .offset:         32
        .size:           8
        .value_kind:     by_value
      - .offset:         40
        .size:           8
        .value_kind:     by_value
      - .offset:         48
        .size:           8
        .value_kind:     by_value
      - .actual_access:  read_only
        .address_space:  global
        .offset:         56
        .size:           8
        .value_kind:     global_buffer
      - .offset:         64
        .size:           8
        .value_kind:     by_value
      - .offset:         72
        .size:           8
        .value_kind:     by_value
      - .offset:         80
        .size:           8
        .value_kind:     by_value
      - .address_space:  global
        .offset:         88
        .size:           8
        .value_kind:     global_buffer
      - .offset:         96
        .size:           8
        .value_kind:     by_value
      - .offset:         104
        .size:           8
        .value_kind:     by_value
      - .offset:         112
        .size:           8
        .value_kind:     by_value
      - .offset:         120
        .size:           4
        .value_kind:     by_value
    .group_segment_fixed_size: 0
    .kernarg_segment_align: 8
    .kernarg_segment_size: 124
    .language:       OpenCL C
    .language_version:
      - 2
      - 0
    .max_flat_workgroup_size: 1024
    .name:           _ZL19rocblas_sger_kernelILi1024E19rocblas_complex_numIfES1_PKS1_PS1_EviiT1_lT2_lllS6_lllT3_lmli
    .private_segment_fixed_size: 0
    .sgpr_count:     38
    .sgpr_spill_count: 0
    .symbol:         _ZL19rocblas_sger_kernelILi1024E19rocblas_complex_numIfES1_PKS1_PS1_EviiT1_lT2_lllS6_lllT3_lmli.kd
    .uniform_work_group_size: 1
    .uses_dynamic_stack: false
    .vgpr_count:     12
    .vgpr_spill_count: 0
    .wavefront_size: 32
    .workgroup_processor_mode: 1
  - .args:
      - .offset:         0
        .size:           4
        .value_kind:     by_value
      - .offset:         4
        .size:           4
        .value_kind:     by_value
      - .address_space:  global
        .offset:         8
        .size:           8
        .value_kind:     global_buffer
      - .offset:         16
        .size:           8
        .value_kind:     by_value
      - .actual_access:  read_only
        .address_space:  global
        .offset:         24
        .size:           8
        .value_kind:     global_buffer
      - .offset:         32
        .size:           8
        .value_kind:     by_value
      - .offset:         40
        .size:           8
        .value_kind:     by_value
      - .offset:         48
        .size:           8
        .value_kind:     by_value
      - .actual_access:  read_only
        .address_space:  global
        .offset:         56
        .size:           8
        .value_kind:     global_buffer
      - .offset:         64
        .size:           8
        .value_kind:     by_value
      - .offset:         72
        .size:           8
        .value_kind:     by_value
      - .offset:         80
        .size:           8
        .value_kind:     by_value
      - .address_space:  global
        .offset:         88
        .size:           8
        .value_kind:     global_buffer
      - .offset:         96
        .size:           8
        .value_kind:     by_value
      - .offset:         104
        .size:           8
        .value_kind:     by_value
      - .offset:         112
        .size:           8
        .value_kind:     by_value
      - .offset:         120
        .size:           4
        .value_kind:     by_value
    .group_segment_fixed_size: 768
    .kernarg_segment_align: 8
    .kernarg_segment_size: 124
    .language:       OpenCL C
    .language_version:
      - 2
      - 0
    .max_flat_workgroup_size: 1024
    .name:           _ZL18rocblas_ger_kernelILi32ELi32ELi2ELb0E19rocblas_complex_numIfEPKS1_S3_PS1_EviiT4_lT5_lllS6_lllT6_lmli
    .private_segment_fixed_size: 0
    .sgpr_count:     26
    .sgpr_spill_count: 0
    .symbol:         _ZL18rocblas_ger_kernelILi32ELi32ELi2ELb0E19rocblas_complex_numIfEPKS1_S3_PS1_EviiT4_lT5_lllS6_lllT6_lmli.kd
    .uniform_work_group_size: 1
    .uses_dynamic_stack: false
    .vgpr_count:     13
    .vgpr_spill_count: 0
    .wavefront_size: 32
    .workgroup_processor_mode: 1
  - .args:
      - .offset:         0
        .size:           4
        .value_kind:     by_value
      - .offset:         4
        .size:           4
        .value_kind:     by_value
      - .offset:         8
        .size:           8
        .value_kind:     by_value
      - .offset:         16
        .size:           8
        .value_kind:     by_value
      - .actual_access:  read_only
        .address_space:  global
        .offset:         24
        .size:           8
        .value_kind:     global_buffer
      - .offset:         32
        .size:           8
        .value_kind:     by_value
      - .offset:         40
        .size:           8
        .value_kind:     by_value
      - .offset:         48
        .size:           8
        .value_kind:     by_value
      - .actual_access:  read_only
        .address_space:  global
        .offset:         56
        .size:           8
        .value_kind:     global_buffer
      - .offset:         64
        .size:           8
        .value_kind:     by_value
      - .offset:         72
        .size:           8
        .value_kind:     by_value
      - .offset:         80
        .size:           8
        .value_kind:     by_value
      - .address_space:  global
        .offset:         88
        .size:           8
        .value_kind:     global_buffer
      - .offset:         96
        .size:           8
        .value_kind:     by_value
      - .offset:         104
        .size:           8
        .value_kind:     by_value
      - .offset:         112
        .size:           8
        .value_kind:     by_value
      - .offset:         120
        .size:           4
        .value_kind:     by_value
    .group_segment_fixed_size: 768
    .kernarg_segment_align: 8
    .kernarg_segment_size: 124
    .language:       OpenCL C
    .language_version:
      - 2
      - 0
    .max_flat_workgroup_size: 1024
    .name:           _ZL18rocblas_ger_kernelILi32ELi32ELi2ELb0E19rocblas_complex_numIfES1_PKS1_PS1_EviiT4_lT5_lllS6_lllT6_lmli
    .private_segment_fixed_size: 0
    .sgpr_count:     26
    .sgpr_spill_count: 0
    .symbol:         _ZL18rocblas_ger_kernelILi32ELi32ELi2ELb0E19rocblas_complex_numIfES1_PKS1_PS1_EviiT4_lT5_lllS6_lllT6_lmli.kd
    .uniform_work_group_size: 1
    .uses_dynamic_stack: false
    .vgpr_count:     13
    .vgpr_spill_count: 0
    .wavefront_size: 32
    .workgroup_processor_mode: 1
  - .args:
      - .offset:         0
        .size:           1
        .value_kind:     by_value
      - .offset:         4
        .size:           4
        .value_kind:     by_value
      - .offset:         8
        .size:           4
        .value_kind:     by_value
      - .offset:         16
        .size:           16
        .value_kind:     by_value
      - .offset:         32
        .size:           8
        .value_kind:     by_value
      - .actual_access:  read_only
        .address_space:  global
        .offset:         40
        .size:           8
        .value_kind:     global_buffer
      - .offset:         48
        .size:           8
        .value_kind:     by_value
      - .offset:         56
        .size:           8
        .value_kind:     by_value
      - .offset:         64
        .size:           8
        .value_kind:     by_value
      - .actual_access:  read_only
        .address_space:  global
        .offset:         72
        .size:           8
        .value_kind:     global_buffer
      - .offset:         80
        .size:           8
        .value_kind:     by_value
      - .offset:         88
        .size:           8
        .value_kind:     by_value
      - .offset:         96
        .size:           8
        .value_kind:     by_value
      - .address_space:  global
        .offset:         104
        .size:           8
        .value_kind:     global_buffer
      - .offset:         112
        .size:           8
        .value_kind:     by_value
      - .offset:         120
        .size:           8
        .value_kind:     by_value
      - .offset:         128
        .size:           8
        .value_kind:     by_value
      - .offset:         136
        .size:           4
        .value_kind:     by_value
    .group_segment_fixed_size: 0
    .kernarg_segment_align: 8
    .kernarg_segment_size: 140
    .language:       OpenCL C
    .language_version:
      - 2
      - 0
    .max_flat_workgroup_size: 1024
    .name:           _ZL34rocblas_ger_double_buffered_kernelILb0ELi64ELi16ELi2E19rocblas_complex_numIdE24rocblas_internal_val_ptrIS1_EPKS1_PS1_EvbiiT4_lT5_lllS8_lllT6_lmli
    .private_segment_fixed_size: 0
    .sgpr_count:     37
    .sgpr_spill_count: 0
    .symbol:         _ZL34rocblas_ger_double_buffered_kernelILb0ELi64ELi16ELi2E19rocblas_complex_numIdE24rocblas_internal_val_ptrIS1_EPKS1_PS1_EvbiiT4_lT5_lllS8_lllT6_lmli.kd
    .uniform_work_group_size: 1
    .uses_dynamic_stack: false
    .vgpr_count:     49
    .vgpr_spill_count: 0
    .wavefront_size: 32
    .workgroup_processor_mode: 1
  - .args:
      - .offset:         0
        .size:           4
        .value_kind:     by_value
      - .offset:         4
        .size:           4
        .value_kind:     by_value
      - .address_space:  global
        .offset:         8
        .size:           8
        .value_kind:     global_buffer
      - .offset:         16
        .size:           8
        .value_kind:     by_value
      - .address_space:  global
        .offset:         24
        .size:           8
        .value_kind:     global_buffer
      - .offset:         32
        .size:           8
        .value_kind:     by_value
      - .offset:         40
        .size:           8
        .value_kind:     by_value
      - .offset:         48
        .size:           8
        .value_kind:     by_value
      - .address_space:  global
        .offset:         56
        .size:           8
        .value_kind:     global_buffer
      - .offset:         64
        .size:           8
        .value_kind:     by_value
      - .offset:         72
        .size:           8
        .value_kind:     by_value
      - .offset:         80
        .size:           8
        .value_kind:     by_value
      - .address_space:  global
        .offset:         88
        .size:           8
        .value_kind:     global_buffer
      - .offset:         96
        .size:           8
        .value_kind:     by_value
      - .offset:         104
        .size:           8
        .value_kind:     by_value
      - .offset:         112
        .size:           8
        .value_kind:     by_value
    .group_segment_fixed_size: 0
    .kernarg_segment_align: 8
    .kernarg_segment_size: 120
    .language:       OpenCL C
    .language_version:
      - 2
      - 0
    .max_flat_workgroup_size: 256
    .name:           _ZL26rocblas_sger_gfx942_kernelILi256E19rocblas_complex_numIdEPKS1_S3_PS1_EviiT1_lT2_lllS6_lllT3_lll
    .private_segment_fixed_size: 0
    .sgpr_count:     0
    .sgpr_spill_count: 0
    .symbol:         _ZL26rocblas_sger_gfx942_kernelILi256E19rocblas_complex_numIdEPKS1_S3_PS1_EviiT1_lT2_lllS6_lllT3_lll.kd
    .uniform_work_group_size: 1
    .uses_dynamic_stack: false
    .vgpr_count:     0
    .vgpr_spill_count: 0
    .wavefront_size: 32
    .workgroup_processor_mode: 1
  - .args:
      - .offset:         0
        .size:           4
        .value_kind:     by_value
      - .offset:         4
        .size:           4
        .value_kind:     by_value
      - .offset:         8
        .size:           16
        .value_kind:     by_value
      - .offset:         24
        .size:           8
        .value_kind:     by_value
      - .address_space:  global
        .offset:         32
        .size:           8
        .value_kind:     global_buffer
      - .offset:         40
        .size:           8
        .value_kind:     by_value
      - .offset:         48
        .size:           8
        .value_kind:     by_value
      - .offset:         56
        .size:           8
        .value_kind:     by_value
      - .address_space:  global
        .offset:         64
        .size:           8
        .value_kind:     global_buffer
      - .offset:         72
        .size:           8
        .value_kind:     by_value
      - .offset:         80
        .size:           8
        .value_kind:     by_value
      - .offset:         88
        .size:           8
        .value_kind:     by_value
      - .address_space:  global
        .offset:         96
        .size:           8
        .value_kind:     global_buffer
      - .offset:         104
        .size:           8
        .value_kind:     by_value
      - .offset:         112
        .size:           8
        .value_kind:     by_value
      - .offset:         120
        .size:           8
        .value_kind:     by_value
    .group_segment_fixed_size: 0
    .kernarg_segment_align: 8
    .kernarg_segment_size: 128
    .language:       OpenCL C
    .language_version:
      - 2
      - 0
    .max_flat_workgroup_size: 256
    .name:           _ZL26rocblas_sger_gfx942_kernelILi256E19rocblas_complex_numIdES1_PKS1_PS1_EviiT1_lT2_lllS6_lllT3_lll
    .private_segment_fixed_size: 0
    .sgpr_count:     0
    .sgpr_spill_count: 0
    .symbol:         _ZL26rocblas_sger_gfx942_kernelILi256E19rocblas_complex_numIdES1_PKS1_PS1_EviiT1_lT2_lllS6_lllT3_lll.kd
    .uniform_work_group_size: 1
    .uses_dynamic_stack: false
    .vgpr_count:     0
    .vgpr_spill_count: 0
    .wavefront_size: 32
    .workgroup_processor_mode: 1
  - .args:
      - .offset:         0
        .size:           4
        .value_kind:     by_value
      - .offset:         4
        .size:           4
        .value_kind:     by_value
      - .address_space:  global
        .offset:         8
        .size:           8
        .value_kind:     global_buffer
      - .offset:         16
        .size:           8
        .value_kind:     by_value
      - .actual_access:  read_only
        .address_space:  global
        .offset:         24
        .size:           8
        .value_kind:     global_buffer
      - .offset:         32
        .size:           8
        .value_kind:     by_value
      - .offset:         40
        .size:           8
        .value_kind:     by_value
      - .offset:         48
        .size:           8
        .value_kind:     by_value
      - .actual_access:  read_only
        .address_space:  global
        .offset:         56
        .size:           8
        .value_kind:     global_buffer
      - .offset:         64
        .size:           8
        .value_kind:     by_value
      - .offset:         72
        .size:           8
        .value_kind:     by_value
      - .offset:         80
        .size:           8
        .value_kind:     by_value
      - .address_space:  global
        .offset:         88
        .size:           8
        .value_kind:     global_buffer
      - .offset:         96
        .size:           8
        .value_kind:     by_value
      - .offset:         104
        .size:           8
        .value_kind:     by_value
      - .offset:         112
        .size:           8
        .value_kind:     by_value
      - .offset:         120
        .size:           4
        .value_kind:     by_value
    .group_segment_fixed_size: 0
    .kernarg_segment_align: 8
    .kernarg_segment_size: 124
    .language:       OpenCL C
    .language_version:
      - 2
      - 0
    .max_flat_workgroup_size: 1024
    .name:           _ZL19rocblas_sger_kernelILi1024E19rocblas_complex_numIdEPKS1_S3_PS1_EviiT1_lT2_lllS6_lllT3_lmli
    .private_segment_fixed_size: 0
    .sgpr_count:     34
    .sgpr_spill_count: 0
    .symbol:         _ZL19rocblas_sger_kernelILi1024E19rocblas_complex_numIdEPKS1_S3_PS1_EviiT1_lT2_lllS6_lllT3_lmli.kd
    .uniform_work_group_size: 1
    .uses_dynamic_stack: false
    .vgpr_count:     19
    .vgpr_spill_count: 0
    .wavefront_size: 32
    .workgroup_processor_mode: 1
  - .args:
      - .offset:         0
        .size:           4
        .value_kind:     by_value
      - .offset:         4
        .size:           4
        .value_kind:     by_value
      - .offset:         8
        .size:           16
        .value_kind:     by_value
      - .offset:         24
        .size:           8
        .value_kind:     by_value
      - .actual_access:  read_only
        .address_space:  global
        .offset:         32
        .size:           8
        .value_kind:     global_buffer
      - .offset:         40
        .size:           8
        .value_kind:     by_value
      - .offset:         48
        .size:           8
        .value_kind:     by_value
      - .offset:         56
        .size:           8
        .value_kind:     by_value
      - .actual_access:  read_only
        .address_space:  global
        .offset:         64
        .size:           8
        .value_kind:     global_buffer
      - .offset:         72
        .size:           8
        .value_kind:     by_value
      - .offset:         80
        .size:           8
        .value_kind:     by_value
      - .offset:         88
        .size:           8
        .value_kind:     by_value
      - .address_space:  global
        .offset:         96
        .size:           8
        .value_kind:     global_buffer
      - .offset:         104
        .size:           8
        .value_kind:     by_value
      - .offset:         112
        .size:           8
        .value_kind:     by_value
      - .offset:         120
        .size:           8
        .value_kind:     by_value
      - .offset:         128
        .size:           4
        .value_kind:     by_value
    .group_segment_fixed_size: 0
    .kernarg_segment_align: 8
    .kernarg_segment_size: 132
    .language:       OpenCL C
    .language_version:
      - 2
      - 0
    .max_flat_workgroup_size: 1024
    .name:           _ZL19rocblas_sger_kernelILi1024E19rocblas_complex_numIdES1_PKS1_PS1_EviiT1_lT2_lllS6_lllT3_lmli
    .private_segment_fixed_size: 0
    .sgpr_count:     34
    .sgpr_spill_count: 0
    .symbol:         _ZL19rocblas_sger_kernelILi1024E19rocblas_complex_numIdES1_PKS1_PS1_EviiT1_lT2_lllS6_lllT3_lmli.kd
    .uniform_work_group_size: 1
    .uses_dynamic_stack: false
    .vgpr_count:     19
    .vgpr_spill_count: 0
    .wavefront_size: 32
    .workgroup_processor_mode: 1
  - .args:
      - .offset:         0
        .size:           4
        .value_kind:     by_value
      - .offset:         4
        .size:           4
        .value_kind:     by_value
      - .address_space:  global
        .offset:         8
        .size:           8
        .value_kind:     global_buffer
      - .offset:         16
        .size:           8
        .value_kind:     by_value
      - .actual_access:  read_only
        .address_space:  global
        .offset:         24
        .size:           8
        .value_kind:     global_buffer
      - .offset:         32
        .size:           8
        .value_kind:     by_value
      - .offset:         40
        .size:           8
        .value_kind:     by_value
      - .offset:         48
        .size:           8
        .value_kind:     by_value
      - .actual_access:  read_only
        .address_space:  global
        .offset:         56
        .size:           8
        .value_kind:     global_buffer
      - .offset:         64
        .size:           8
        .value_kind:     by_value
      - .offset:         72
        .size:           8
        .value_kind:     by_value
      - .offset:         80
        .size:           8
        .value_kind:     by_value
      - .address_space:  global
        .offset:         88
        .size:           8
        .value_kind:     global_buffer
      - .offset:         96
        .size:           8
        .value_kind:     by_value
      - .offset:         104
        .size:           8
        .value_kind:     by_value
      - .offset:         112
        .size:           8
        .value_kind:     by_value
      - .offset:         120
        .size:           4
        .value_kind:     by_value
    .group_segment_fixed_size: 1536
    .kernarg_segment_align: 8
    .kernarg_segment_size: 124
    .language:       OpenCL C
    .language_version:
      - 2
      - 0
    .max_flat_workgroup_size: 1024
    .name:           _ZL18rocblas_ger_kernelILi32ELi32ELi2ELb0E19rocblas_complex_numIdEPKS1_S3_PS1_EviiT4_lT5_lllS6_lllT6_lmli
    .private_segment_fixed_size: 0
    .sgpr_count:     26
    .sgpr_spill_count: 0
    .symbol:         _ZL18rocblas_ger_kernelILi32ELi32ELi2ELb0E19rocblas_complex_numIdEPKS1_S3_PS1_EviiT4_lT5_lllS6_lllT6_lmli.kd
    .uniform_work_group_size: 1
    .uses_dynamic_stack: false
    .vgpr_count:     21
    .vgpr_spill_count: 0
    .wavefront_size: 32
    .workgroup_processor_mode: 1
  - .args:
      - .offset:         0
        .size:           4
        .value_kind:     by_value
      - .offset:         4
        .size:           4
        .value_kind:     by_value
      - .offset:         8
        .size:           16
        .value_kind:     by_value
      - .offset:         24
        .size:           8
        .value_kind:     by_value
      - .actual_access:  read_only
        .address_space:  global
        .offset:         32
        .size:           8
        .value_kind:     global_buffer
      - .offset:         40
        .size:           8
        .value_kind:     by_value
      - .offset:         48
        .size:           8
        .value_kind:     by_value
      - .offset:         56
        .size:           8
        .value_kind:     by_value
      - .actual_access:  read_only
        .address_space:  global
        .offset:         64
        .size:           8
        .value_kind:     global_buffer
      - .offset:         72
        .size:           8
        .value_kind:     by_value
      - .offset:         80
        .size:           8
        .value_kind:     by_value
      - .offset:         88
        .size:           8
        .value_kind:     by_value
      - .address_space:  global
        .offset:         96
        .size:           8
        .value_kind:     global_buffer
      - .offset:         104
        .size:           8
        .value_kind:     by_value
      - .offset:         112
        .size:           8
        .value_kind:     by_value
      - .offset:         120
        .size:           8
        .value_kind:     by_value
      - .offset:         128
        .size:           4
        .value_kind:     by_value
    .group_segment_fixed_size: 1536
    .kernarg_segment_align: 8
    .kernarg_segment_size: 132
    .language:       OpenCL C
    .language_version:
      - 2
      - 0
    .max_flat_workgroup_size: 1024
    .name:           _ZL18rocblas_ger_kernelILi32ELi32ELi2ELb0E19rocblas_complex_numIdES1_PKS1_PS1_EviiT4_lT5_lllS6_lllT6_lmli
    .private_segment_fixed_size: 0
    .sgpr_count:     26
    .sgpr_spill_count: 0
    .symbol:         _ZL18rocblas_ger_kernelILi32ELi32ELi2ELb0E19rocblas_complex_numIdES1_PKS1_PS1_EviiT4_lT5_lllS6_lllT6_lmli.kd
    .uniform_work_group_size: 1
    .uses_dynamic_stack: false
    .vgpr_count:     21
    .vgpr_spill_count: 0
    .wavefront_size: 32
    .workgroup_processor_mode: 1
  - .args:
      - .offset:         0
        .size:           1
        .value_kind:     by_value
      - .offset:         4
        .size:           4
        .value_kind:     by_value
      - .offset:         8
        .size:           4
        .value_kind:     by_value
      - .offset:         16
        .size:           8
        .value_kind:     by_value
      - .offset:         24
        .size:           8
        .value_kind:     by_value
      - .actual_access:  read_only
        .address_space:  global
        .offset:         32
        .size:           8
        .value_kind:     global_buffer
      - .offset:         40
        .size:           8
        .value_kind:     by_value
      - .offset:         48
        .size:           8
        .value_kind:     by_value
      - .offset:         56
        .size:           8
        .value_kind:     by_value
      - .actual_access:  read_only
        .address_space:  global
        .offset:         64
        .size:           8
        .value_kind:     global_buffer
      - .offset:         72
        .size:           8
        .value_kind:     by_value
      - .offset:         80
        .size:           8
        .value_kind:     by_value
      - .offset:         88
        .size:           8
        .value_kind:     by_value
      - .address_space:  global
        .offset:         96
        .size:           8
        .value_kind:     global_buffer
      - .offset:         104
        .size:           8
        .value_kind:     by_value
      - .offset:         112
        .size:           8
        .value_kind:     by_value
      - .offset:         120
        .size:           8
        .value_kind:     by_value
      - .offset:         128
        .size:           4
        .value_kind:     by_value
    .group_segment_fixed_size: 0
    .kernarg_segment_align: 8
    .kernarg_segment_size: 132
    .language:       OpenCL C
    .language_version:
      - 2
      - 0
    .max_flat_workgroup_size: 1024
    .name:           _ZL34rocblas_ger_double_buffered_kernelILb1ELi64ELi16ELi2E19rocblas_complex_numIfE24rocblas_internal_val_ptrIS1_EPKS1_PS1_EvbiiT4_lT5_lllS8_lllT6_lmli
    .private_segment_fixed_size: 0
    .sgpr_count:     34
    .sgpr_spill_count: 0
    .symbol:         _ZL34rocblas_ger_double_buffered_kernelILb1ELi64ELi16ELi2E19rocblas_complex_numIfE24rocblas_internal_val_ptrIS1_EPKS1_PS1_EvbiiT4_lT5_lllS8_lllT6_lmli.kd
    .uniform_work_group_size: 1
    .uses_dynamic_stack: false
    .vgpr_count:     26
    .vgpr_spill_count: 0
    .wavefront_size: 32
    .workgroup_processor_mode: 1
  - .args:
      - .offset:         0
        .size:           4
        .value_kind:     by_value
      - .offset:         4
        .size:           4
        .value_kind:     by_value
      - .address_space:  global
        .offset:         8
        .size:           8
        .value_kind:     global_buffer
      - .offset:         16
        .size:           8
        .value_kind:     by_value
      - .actual_access:  read_only
        .address_space:  global
        .offset:         24
        .size:           8
        .value_kind:     global_buffer
      - .offset:         32
        .size:           8
        .value_kind:     by_value
      - .offset:         40
        .size:           8
        .value_kind:     by_value
      - .offset:         48
        .size:           8
        .value_kind:     by_value
      - .actual_access:  read_only
        .address_space:  global
        .offset:         56
        .size:           8
        .value_kind:     global_buffer
      - .offset:         64
        .size:           8
        .value_kind:     by_value
      - .offset:         72
        .size:           8
        .value_kind:     by_value
      - .offset:         80
        .size:           8
        .value_kind:     by_value
      - .address_space:  global
        .offset:         88
        .size:           8
        .value_kind:     global_buffer
      - .offset:         96
        .size:           8
        .value_kind:     by_value
      - .offset:         104
        .size:           8
        .value_kind:     by_value
      - .offset:         112
        .size:           8
        .value_kind:     by_value
      - .offset:         120
        .size:           4
        .value_kind:     by_value
    .group_segment_fixed_size: 768
    .kernarg_segment_align: 8
    .kernarg_segment_size: 124
    .language:       OpenCL C
    .language_version:
      - 2
      - 0
    .max_flat_workgroup_size: 1024
    .name:           _ZL18rocblas_ger_kernelILi32ELi32ELi2ELb1E19rocblas_complex_numIfEPKS1_S3_PS1_EviiT4_lT5_lllS6_lllT6_lmli
    .private_segment_fixed_size: 0
    .sgpr_count:     26
    .sgpr_spill_count: 0
    .symbol:         _ZL18rocblas_ger_kernelILi32ELi32ELi2ELb1E19rocblas_complex_numIfEPKS1_S3_PS1_EviiT4_lT5_lllS6_lllT6_lmli.kd
    .uniform_work_group_size: 1
    .uses_dynamic_stack: false
    .vgpr_count:     13
    .vgpr_spill_count: 0
    .wavefront_size: 32
    .workgroup_processor_mode: 1
  - .args:
      - .offset:         0
        .size:           4
        .value_kind:     by_value
      - .offset:         4
        .size:           4
        .value_kind:     by_value
      - .offset:         8
        .size:           8
        .value_kind:     by_value
      - .offset:         16
        .size:           8
        .value_kind:     by_value
      - .actual_access:  read_only
        .address_space:  global
        .offset:         24
        .size:           8
        .value_kind:     global_buffer
      - .offset:         32
        .size:           8
        .value_kind:     by_value
      - .offset:         40
        .size:           8
        .value_kind:     by_value
      - .offset:         48
        .size:           8
        .value_kind:     by_value
      - .actual_access:  read_only
        .address_space:  global
        .offset:         56
        .size:           8
        .value_kind:     global_buffer
      - .offset:         64
        .size:           8
        .value_kind:     by_value
      - .offset:         72
        .size:           8
        .value_kind:     by_value
      - .offset:         80
        .size:           8
        .value_kind:     by_value
      - .address_space:  global
        .offset:         88
        .size:           8
        .value_kind:     global_buffer
      - .offset:         96
        .size:           8
        .value_kind:     by_value
      - .offset:         104
        .size:           8
        .value_kind:     by_value
      - .offset:         112
        .size:           8
        .value_kind:     by_value
      - .offset:         120
        .size:           4
        .value_kind:     by_value
    .group_segment_fixed_size: 768
    .kernarg_segment_align: 8
    .kernarg_segment_size: 124
    .language:       OpenCL C
    .language_version:
      - 2
      - 0
    .max_flat_workgroup_size: 1024
    .name:           _ZL18rocblas_ger_kernelILi32ELi32ELi2ELb1E19rocblas_complex_numIfES1_PKS1_PS1_EviiT4_lT5_lllS6_lllT6_lmli
    .private_segment_fixed_size: 0
    .sgpr_count:     26
    .sgpr_spill_count: 0
    .symbol:         _ZL18rocblas_ger_kernelILi32ELi32ELi2ELb1E19rocblas_complex_numIfES1_PKS1_PS1_EviiT4_lT5_lllS6_lllT6_lmli.kd
    .uniform_work_group_size: 1
    .uses_dynamic_stack: false
    .vgpr_count:     13
    .vgpr_spill_count: 0
    .wavefront_size: 32
    .workgroup_processor_mode: 1
  - .args:
      - .offset:         0
        .size:           1
        .value_kind:     by_value
      - .offset:         4
        .size:           4
        .value_kind:     by_value
      - .offset:         8
        .size:           4
        .value_kind:     by_value
      - .offset:         16
        .size:           16
        .value_kind:     by_value
      - .offset:         32
        .size:           8
        .value_kind:     by_value
      - .actual_access:  read_only
        .address_space:  global
        .offset:         40
        .size:           8
        .value_kind:     global_buffer
      - .offset:         48
        .size:           8
        .value_kind:     by_value
      - .offset:         56
        .size:           8
        .value_kind:     by_value
      - .offset:         64
        .size:           8
        .value_kind:     by_value
      - .actual_access:  read_only
        .address_space:  global
        .offset:         72
        .size:           8
        .value_kind:     global_buffer
      - .offset:         80
        .size:           8
        .value_kind:     by_value
      - .offset:         88
        .size:           8
        .value_kind:     by_value
      - .offset:         96
        .size:           8
        .value_kind:     by_value
      - .address_space:  global
        .offset:         104
        .size:           8
        .value_kind:     global_buffer
      - .offset:         112
        .size:           8
        .value_kind:     by_value
      - .offset:         120
        .size:           8
        .value_kind:     by_value
      - .offset:         128
        .size:           8
        .value_kind:     by_value
      - .offset:         136
        .size:           4
        .value_kind:     by_value
    .group_segment_fixed_size: 0
    .kernarg_segment_align: 8
    .kernarg_segment_size: 140
    .language:       OpenCL C
    .language_version:
      - 2
      - 0
    .max_flat_workgroup_size: 1024
    .name:           _ZL34rocblas_ger_double_buffered_kernelILb1ELi64ELi16ELi2E19rocblas_complex_numIdE24rocblas_internal_val_ptrIS1_EPKS1_PS1_EvbiiT4_lT5_lllS8_lllT6_lmli
    .private_segment_fixed_size: 0
    .sgpr_count:     37
    .sgpr_spill_count: 0
    .symbol:         _ZL34rocblas_ger_double_buffered_kernelILb1ELi64ELi16ELi2E19rocblas_complex_numIdE24rocblas_internal_val_ptrIS1_EPKS1_PS1_EvbiiT4_lT5_lllS8_lllT6_lmli.kd
    .uniform_work_group_size: 1
    .uses_dynamic_stack: false
    .vgpr_count:     49
    .vgpr_spill_count: 0
    .wavefront_size: 32
    .workgroup_processor_mode: 1
  - .args:
      - .offset:         0
        .size:           4
        .value_kind:     by_value
      - .offset:         4
        .size:           4
        .value_kind:     by_value
      - .address_space:  global
        .offset:         8
        .size:           8
        .value_kind:     global_buffer
      - .offset:         16
        .size:           8
        .value_kind:     by_value
      - .actual_access:  read_only
        .address_space:  global
        .offset:         24
        .size:           8
        .value_kind:     global_buffer
      - .offset:         32
        .size:           8
        .value_kind:     by_value
      - .offset:         40
        .size:           8
        .value_kind:     by_value
      - .offset:         48
        .size:           8
        .value_kind:     by_value
      - .actual_access:  read_only
        .address_space:  global
        .offset:         56
        .size:           8
        .value_kind:     global_buffer
      - .offset:         64
        .size:           8
        .value_kind:     by_value
      - .offset:         72
        .size:           8
        .value_kind:     by_value
      - .offset:         80
        .size:           8
        .value_kind:     by_value
      - .address_space:  global
        .offset:         88
        .size:           8
        .value_kind:     global_buffer
      - .offset:         96
        .size:           8
        .value_kind:     by_value
      - .offset:         104
        .size:           8
        .value_kind:     by_value
      - .offset:         112
        .size:           8
        .value_kind:     by_value
      - .offset:         120
        .size:           4
        .value_kind:     by_value
    .group_segment_fixed_size: 1536
    .kernarg_segment_align: 8
    .kernarg_segment_size: 124
    .language:       OpenCL C
    .language_version:
      - 2
      - 0
    .max_flat_workgroup_size: 1024
    .name:           _ZL18rocblas_ger_kernelILi32ELi32ELi2ELb1E19rocblas_complex_numIdEPKS1_S3_PS1_EviiT4_lT5_lllS6_lllT6_lmli
    .private_segment_fixed_size: 0
    .sgpr_count:     26
    .sgpr_spill_count: 0
    .symbol:         _ZL18rocblas_ger_kernelILi32ELi32ELi2ELb1E19rocblas_complex_numIdEPKS1_S3_PS1_EviiT4_lT5_lllS6_lllT6_lmli.kd
    .uniform_work_group_size: 1
    .uses_dynamic_stack: false
    .vgpr_count:     21
    .vgpr_spill_count: 0
    .wavefront_size: 32
    .workgroup_processor_mode: 1
  - .args:
      - .offset:         0
        .size:           4
        .value_kind:     by_value
      - .offset:         4
        .size:           4
        .value_kind:     by_value
      - .offset:         8
        .size:           16
        .value_kind:     by_value
      - .offset:         24
        .size:           8
        .value_kind:     by_value
      - .actual_access:  read_only
        .address_space:  global
        .offset:         32
        .size:           8
        .value_kind:     global_buffer
      - .offset:         40
        .size:           8
        .value_kind:     by_value
      - .offset:         48
        .size:           8
        .value_kind:     by_value
      - .offset:         56
        .size:           8
        .value_kind:     by_value
      - .actual_access:  read_only
        .address_space:  global
        .offset:         64
        .size:           8
        .value_kind:     global_buffer
      - .offset:         72
        .size:           8
        .value_kind:     by_value
      - .offset:         80
        .size:           8
        .value_kind:     by_value
      - .offset:         88
        .size:           8
        .value_kind:     by_value
      - .address_space:  global
        .offset:         96
        .size:           8
        .value_kind:     global_buffer
      - .offset:         104
        .size:           8
        .value_kind:     by_value
      - .offset:         112
        .size:           8
        .value_kind:     by_value
      - .offset:         120
        .size:           8
        .value_kind:     by_value
      - .offset:         128
        .size:           4
        .value_kind:     by_value
    .group_segment_fixed_size: 1536
    .kernarg_segment_align: 8
    .kernarg_segment_size: 132
    .language:       OpenCL C
    .language_version:
      - 2
      - 0
    .max_flat_workgroup_size: 1024
    .name:           _ZL18rocblas_ger_kernelILi32ELi32ELi2ELb1E19rocblas_complex_numIdES1_PKS1_PS1_EviiT4_lT5_lllS6_lllT6_lmli
    .private_segment_fixed_size: 0
    .sgpr_count:     26
    .sgpr_spill_count: 0
    .symbol:         _ZL18rocblas_ger_kernelILi32ELi32ELi2ELb1E19rocblas_complex_numIdES1_PKS1_PS1_EviiT4_lT5_lllS6_lllT6_lmli.kd
    .uniform_work_group_size: 1
    .uses_dynamic_stack: false
    .vgpr_count:     21
    .vgpr_spill_count: 0
    .wavefront_size: 32
    .workgroup_processor_mode: 1
  - .args:
      - .offset:         0
        .size:           1
        .value_kind:     by_value
      - .offset:         4
        .size:           4
        .value_kind:     by_value
      - .offset:         8
        .size:           4
        .value_kind:     by_value
      - .offset:         16
        .size:           8
        .value_kind:     by_value
      - .offset:         24
        .size:           8
        .value_kind:     by_value
      - .actual_access:  read_only
        .address_space:  global
        .offset:         32
        .size:           8
        .value_kind:     global_buffer
      - .offset:         40
        .size:           8
        .value_kind:     by_value
      - .offset:         48
        .size:           8
        .value_kind:     by_value
      - .offset:         56
        .size:           8
        .value_kind:     by_value
      - .actual_access:  read_only
        .address_space:  global
        .offset:         64
        .size:           8
        .value_kind:     global_buffer
      - .offset:         72
        .size:           8
        .value_kind:     by_value
      - .offset:         80
        .size:           8
        .value_kind:     by_value
      - .offset:         88
        .size:           8
        .value_kind:     by_value
      - .actual_access:  read_only
        .address_space:  global
        .offset:         96
        .size:           8
        .value_kind:     global_buffer
      - .offset:         104
        .size:           8
        .value_kind:     by_value
      - .offset:         112
        .size:           8
        .value_kind:     by_value
      - .offset:         120
        .size:           8
        .value_kind:     by_value
      - .offset:         128
        .size:           4
        .value_kind:     by_value
    .group_segment_fixed_size: 0
    .kernarg_segment_align: 8
    .kernarg_segment_size: 132
    .language:       OpenCL C
    .language_version:
      - 2
      - 0
    .max_flat_workgroup_size: 1024
    .name:           _ZL34rocblas_ger_double_buffered_kernelILb0ELi128ELi8ELi8Ef24rocblas_internal_val_ptrIfEPKPKfPKPfEvbiiT4_lT5_lllSA_lllT6_lmli
    .private_segment_fixed_size: 0
    .sgpr_count:     27
    .sgpr_spill_count: 0
    .symbol:         _ZL34rocblas_ger_double_buffered_kernelILb0ELi128ELi8ELi8Ef24rocblas_internal_val_ptrIfEPKPKfPKPfEvbiiT4_lT5_lllSA_lllT6_lmli.kd
    .uniform_work_group_size: 1
    .uses_dynamic_stack: false
    .vgpr_count:     50
    .vgpr_spill_count: 0
    .wavefront_size: 32
    .workgroup_processor_mode: 1
  - .args:
      - .offset:         0
        .size:           4
        .value_kind:     by_value
      - .offset:         4
        .size:           4
        .value_kind:     by_value
      - .address_space:  global
        .offset:         8
        .size:           8
        .value_kind:     global_buffer
      - .offset:         16
        .size:           8
        .value_kind:     by_value
      - .address_space:  global
        .offset:         24
        .size:           8
        .value_kind:     global_buffer
      - .offset:         32
        .size:           8
        .value_kind:     by_value
      - .offset:         40
        .size:           8
        .value_kind:     by_value
      - .offset:         48
        .size:           8
        .value_kind:     by_value
      - .address_space:  global
        .offset:         56
        .size:           8
        .value_kind:     global_buffer
      - .offset:         64
        .size:           8
        .value_kind:     by_value
      - .offset:         72
        .size:           8
        .value_kind:     by_value
      - .offset:         80
        .size:           8
        .value_kind:     by_value
      - .address_space:  global
        .offset:         88
        .size:           8
        .value_kind:     global_buffer
      - .offset:         96
        .size:           8
        .value_kind:     by_value
      - .offset:         104
        .size:           8
        .value_kind:     by_value
      - .offset:         112
        .size:           8
        .value_kind:     by_value
    .group_segment_fixed_size: 0
    .kernarg_segment_align: 8
    .kernarg_segment_size: 120
    .language:       OpenCL C
    .language_version:
      - 2
      - 0
    .max_flat_workgroup_size: 256
    .name:           _ZL26rocblas_sger_gfx942_kernelILi256EfPKfPKS1_PKPfEviiT1_lT2_lllS8_lllT3_lll
    .private_segment_fixed_size: 0
    .sgpr_count:     0
    .sgpr_spill_count: 0
    .symbol:         _ZL26rocblas_sger_gfx942_kernelILi256EfPKfPKS1_PKPfEviiT1_lT2_lllS8_lllT3_lll.kd
    .uniform_work_group_size: 1
    .uses_dynamic_stack: false
    .vgpr_count:     0
    .vgpr_spill_count: 0
    .wavefront_size: 32
    .workgroup_processor_mode: 1
  - .args:
      - .offset:         0
        .size:           4
        .value_kind:     by_value
      - .offset:         4
        .size:           4
        .value_kind:     by_value
      - .offset:         8
        .size:           4
        .value_kind:     by_value
      - .offset:         16
        .size:           8
        .value_kind:     by_value
      - .address_space:  global
        .offset:         24
        .size:           8
        .value_kind:     global_buffer
      - .offset:         32
        .size:           8
        .value_kind:     by_value
      - .offset:         40
        .size:           8
        .value_kind:     by_value
      - .offset:         48
        .size:           8
        .value_kind:     by_value
      - .address_space:  global
        .offset:         56
        .size:           8
        .value_kind:     global_buffer
      - .offset:         64
        .size:           8
        .value_kind:     by_value
      - .offset:         72
        .size:           8
        .value_kind:     by_value
      - .offset:         80
        .size:           8
        .value_kind:     by_value
      - .address_space:  global
        .offset:         88
        .size:           8
        .value_kind:     global_buffer
      - .offset:         96
        .size:           8
        .value_kind:     by_value
      - .offset:         104
        .size:           8
        .value_kind:     by_value
      - .offset:         112
        .size:           8
        .value_kind:     by_value
    .group_segment_fixed_size: 0
    .kernarg_segment_align: 8
    .kernarg_segment_size: 120
    .language:       OpenCL C
    .language_version:
      - 2
      - 0
    .max_flat_workgroup_size: 256
    .name:           _ZL26rocblas_sger_gfx942_kernelILi256EffPKPKfPKPfEviiT1_lT2_lllS8_lllT3_lll
    .private_segment_fixed_size: 0
    .sgpr_count:     0
    .sgpr_spill_count: 0
    .symbol:         _ZL26rocblas_sger_gfx942_kernelILi256EffPKPKfPKPfEviiT1_lT2_lllS8_lllT3_lll.kd
    .uniform_work_group_size: 1
    .uses_dynamic_stack: false
    .vgpr_count:     0
    .vgpr_spill_count: 0
    .wavefront_size: 32
    .workgroup_processor_mode: 1
  - .args:
      - .offset:         0
        .size:           4
        .value_kind:     by_value
      - .offset:         4
        .size:           4
        .value_kind:     by_value
      - .address_space:  global
        .offset:         8
        .size:           8
        .value_kind:     global_buffer
      - .offset:         16
        .size:           8
        .value_kind:     by_value
      - .actual_access:  read_only
        .address_space:  global
        .offset:         24
        .size:           8
        .value_kind:     global_buffer
      - .offset:         32
        .size:           8
        .value_kind:     by_value
      - .offset:         40
        .size:           8
        .value_kind:     by_value
      - .offset:         48
        .size:           8
        .value_kind:     by_value
      - .actual_access:  read_only
        .address_space:  global
        .offset:         56
        .size:           8
        .value_kind:     global_buffer
      - .offset:         64
        .size:           8
        .value_kind:     by_value
      - .offset:         72
        .size:           8
        .value_kind:     by_value
      - .offset:         80
        .size:           8
        .value_kind:     by_value
      - .actual_access:  read_only
        .address_space:  global
        .offset:         88
        .size:           8
        .value_kind:     global_buffer
      - .offset:         96
        .size:           8
        .value_kind:     by_value
      - .offset:         104
        .size:           8
        .value_kind:     by_value
      - .offset:         112
        .size:           8
        .value_kind:     by_value
      - .offset:         120
        .size:           4
        .value_kind:     by_value
    .group_segment_fixed_size: 0
    .kernarg_segment_align: 8
    .kernarg_segment_size: 124
    .language:       OpenCL C
    .language_version:
      - 2
      - 0
    .max_flat_workgroup_size: 1024
    .name:           _ZL19rocblas_sger_kernelILi1024EfPKfPKS1_PKPfEviiT1_lT2_lllS8_lllT3_lmli
    .private_segment_fixed_size: 0
    .sgpr_count:     27
    .sgpr_spill_count: 0
    .symbol:         _ZL19rocblas_sger_kernelILi1024EfPKfPKS1_PKPfEviiT1_lT2_lllS8_lllT3_lmli.kd
    .uniform_work_group_size: 1
    .uses_dynamic_stack: false
    .vgpr_count:     8
    .vgpr_spill_count: 0
    .wavefront_size: 32
    .workgroup_processor_mode: 1
  - .args:
      - .offset:         0
        .size:           4
        .value_kind:     by_value
      - .offset:         4
        .size:           4
        .value_kind:     by_value
      - .offset:         8
        .size:           4
        .value_kind:     by_value
      - .offset:         16
        .size:           8
        .value_kind:     by_value
      - .actual_access:  read_only
        .address_space:  global
        .offset:         24
        .size:           8
        .value_kind:     global_buffer
      - .offset:         32
        .size:           8
        .value_kind:     by_value
      - .offset:         40
        .size:           8
        .value_kind:     by_value
      - .offset:         48
        .size:           8
        .value_kind:     by_value
      - .actual_access:  read_only
        .address_space:  global
        .offset:         56
        .size:           8
        .value_kind:     global_buffer
      - .offset:         64
        .size:           8
        .value_kind:     by_value
      - .offset:         72
        .size:           8
        .value_kind:     by_value
      - .offset:         80
        .size:           8
        .value_kind:     by_value
      - .actual_access:  read_only
        .address_space:  global
        .offset:         88
        .size:           8
        .value_kind:     global_buffer
      - .offset:         96
        .size:           8
        .value_kind:     by_value
      - .offset:         104
        .size:           8
        .value_kind:     by_value
      - .offset:         112
        .size:           8
        .value_kind:     by_value
      - .offset:         120
        .size:           4
        .value_kind:     by_value
    .group_segment_fixed_size: 0
    .kernarg_segment_align: 8
    .kernarg_segment_size: 124
    .language:       OpenCL C
    .language_version:
      - 2
      - 0
    .max_flat_workgroup_size: 1024
    .name:           _ZL19rocblas_sger_kernelILi1024EffPKPKfPKPfEviiT1_lT2_lllS8_lllT3_lmli
    .private_segment_fixed_size: 0
    .sgpr_count:     30
    .sgpr_spill_count: 0
    .symbol:         _ZL19rocblas_sger_kernelILi1024EffPKPKfPKPfEviiT1_lT2_lllS8_lllT3_lmli.kd
    .uniform_work_group_size: 1
    .uses_dynamic_stack: false
    .vgpr_count:     8
    .vgpr_spill_count: 0
    .wavefront_size: 32
    .workgroup_processor_mode: 1
  - .args:
      - .offset:         0
        .size:           4
        .value_kind:     by_value
      - .offset:         4
        .size:           4
        .value_kind:     by_value
      - .address_space:  global
        .offset:         8
        .size:           8
        .value_kind:     global_buffer
      - .offset:         16
        .size:           8
        .value_kind:     by_value
      - .actual_access:  read_only
        .address_space:  global
        .offset:         24
        .size:           8
        .value_kind:     global_buffer
      - .offset:         32
        .size:           8
        .value_kind:     by_value
      - .offset:         40
        .size:           8
        .value_kind:     by_value
      - .offset:         48
        .size:           8
        .value_kind:     by_value
      - .actual_access:  read_only
        .address_space:  global
        .offset:         56
        .size:           8
        .value_kind:     global_buffer
      - .offset:         64
        .size:           8
        .value_kind:     by_value
      - .offset:         72
        .size:           8
        .value_kind:     by_value
      - .offset:         80
        .size:           8
        .value_kind:     by_value
      - .actual_access:  read_only
        .address_space:  global
        .offset:         88
        .size:           8
        .value_kind:     global_buffer
      - .offset:         96
        .size:           8
        .value_kind:     by_value
      - .offset:         104
        .size:           8
        .value_kind:     by_value
      - .offset:         112
        .size:           8
        .value_kind:     by_value
      - .offset:         120
        .size:           4
        .value_kind:     by_value
    .group_segment_fixed_size: 384
    .kernarg_segment_align: 8
    .kernarg_segment_size: 124
    .language:       OpenCL C
    .language_version:
      - 2
      - 0
    .max_flat_workgroup_size: 1024
    .name:           _ZL18rocblas_ger_kernelILi32ELi32ELi2ELb0EfPKfPKS1_PKPfEviiT4_lT5_lllS8_lllT6_lmli
    .private_segment_fixed_size: 0
    .sgpr_count:     22
    .sgpr_spill_count: 0
    .symbol:         _ZL18rocblas_ger_kernelILi32ELi32ELi2ELb0EfPKfPKS1_PKPfEviiT4_lT5_lllS8_lllT6_lmli.kd
    .uniform_work_group_size: 1
    .uses_dynamic_stack: false
    .vgpr_count:     9
    .vgpr_spill_count: 0
    .wavefront_size: 32
    .workgroup_processor_mode: 1
  - .args:
      - .offset:         0
        .size:           4
        .value_kind:     by_value
      - .offset:         4
        .size:           4
        .value_kind:     by_value
      - .offset:         8
        .size:           4
        .value_kind:     by_value
      - .offset:         16
        .size:           8
        .value_kind:     by_value
      - .actual_access:  read_only
        .address_space:  global
        .offset:         24
        .size:           8
        .value_kind:     global_buffer
      - .offset:         32
        .size:           8
        .value_kind:     by_value
      - .offset:         40
        .size:           8
        .value_kind:     by_value
      - .offset:         48
        .size:           8
        .value_kind:     by_value
      - .actual_access:  read_only
        .address_space:  global
        .offset:         56
        .size:           8
        .value_kind:     global_buffer
      - .offset:         64
        .size:           8
        .value_kind:     by_value
      - .offset:         72
        .size:           8
        .value_kind:     by_value
      - .offset:         80
        .size:           8
        .value_kind:     by_value
      - .actual_access:  read_only
        .address_space:  global
        .offset:         88
        .size:           8
        .value_kind:     global_buffer
      - .offset:         96
        .size:           8
        .value_kind:     by_value
      - .offset:         104
        .size:           8
        .value_kind:     by_value
      - .offset:         112
        .size:           8
        .value_kind:     by_value
      - .offset:         120
        .size:           4
        .value_kind:     by_value
    .group_segment_fixed_size: 384
    .kernarg_segment_align: 8
    .kernarg_segment_size: 124
    .language:       OpenCL C
    .language_version:
      - 2
      - 0
    .max_flat_workgroup_size: 1024
    .name:           _ZL18rocblas_ger_kernelILi32ELi32ELi2ELb0EffPKPKfPKPfEviiT4_lT5_lllS8_lllT6_lmli
    .private_segment_fixed_size: 0
    .sgpr_count:     22
    .sgpr_spill_count: 0
    .symbol:         _ZL18rocblas_ger_kernelILi32ELi32ELi2ELb0EffPKPKfPKPfEviiT4_lT5_lllS8_lllT6_lmli.kd
    .uniform_work_group_size: 1
    .uses_dynamic_stack: false
    .vgpr_count:     9
    .vgpr_spill_count: 0
    .wavefront_size: 32
    .workgroup_processor_mode: 1
  - .args:
      - .offset:         0
        .size:           1
        .value_kind:     by_value
      - .offset:         4
        .size:           4
        .value_kind:     by_value
      - .offset:         8
        .size:           4
        .value_kind:     by_value
      - .offset:         16
        .size:           8
        .value_kind:     by_value
      - .offset:         24
        .size:           8
        .value_kind:     by_value
      - .actual_access:  read_only
        .address_space:  global
        .offset:         32
        .size:           8
        .value_kind:     global_buffer
      - .offset:         40
        .size:           8
        .value_kind:     by_value
      - .offset:         48
        .size:           8
        .value_kind:     by_value
      - .offset:         56
        .size:           8
        .value_kind:     by_value
      - .actual_access:  read_only
        .address_space:  global
        .offset:         64
        .size:           8
        .value_kind:     global_buffer
      - .offset:         72
        .size:           8
        .value_kind:     by_value
      - .offset:         80
        .size:           8
        .value_kind:     by_value
      - .offset:         88
        .size:           8
        .value_kind:     by_value
      - .actual_access:  read_only
        .address_space:  global
        .offset:         96
        .size:           8
        .value_kind:     global_buffer
      - .offset:         104
        .size:           8
        .value_kind:     by_value
      - .offset:         112
        .size:           8
        .value_kind:     by_value
      - .offset:         120
        .size:           8
        .value_kind:     by_value
      - .offset:         128
        .size:           4
        .value_kind:     by_value
    .group_segment_fixed_size: 0
    .kernarg_segment_align: 8
    .kernarg_segment_size: 132
    .language:       OpenCL C
    .language_version:
      - 2
      - 0
    .max_flat_workgroup_size: 1024
    .name:           _ZL34rocblas_ger_double_buffered_kernelILb0ELi64ELi16ELi2Ed24rocblas_internal_val_ptrIdEPKPKdPKPdEvbiiT4_lT5_lllSA_lllT6_lmli
    .private_segment_fixed_size: 0
    .sgpr_count:     26
    .sgpr_spill_count: 0
    .symbol:         _ZL34rocblas_ger_double_buffered_kernelILb0ELi64ELi16ELi2Ed24rocblas_internal_val_ptrIdEPKPKdPKPdEvbiiT4_lT5_lllSA_lllT6_lmli.kd
    .uniform_work_group_size: 1
    .uses_dynamic_stack: false
    .vgpr_count:     23
    .vgpr_spill_count: 0
    .wavefront_size: 32
    .workgroup_processor_mode: 1
  - .args:
      - .offset:         0
        .size:           4
        .value_kind:     by_value
      - .offset:         4
        .size:           4
        .value_kind:     by_value
      - .address_space:  global
        .offset:         8
        .size:           8
        .value_kind:     global_buffer
      - .offset:         16
        .size:           8
        .value_kind:     by_value
      - .address_space:  global
        .offset:         24
        .size:           8
        .value_kind:     global_buffer
      - .offset:         32
        .size:           8
        .value_kind:     by_value
      - .offset:         40
        .size:           8
        .value_kind:     by_value
      - .offset:         48
        .size:           8
        .value_kind:     by_value
      - .address_space:  global
        .offset:         56
        .size:           8
        .value_kind:     global_buffer
      - .offset:         64
        .size:           8
        .value_kind:     by_value
      - .offset:         72
        .size:           8
        .value_kind:     by_value
      - .offset:         80
        .size:           8
        .value_kind:     by_value
      - .address_space:  global
        .offset:         88
        .size:           8
        .value_kind:     global_buffer
      - .offset:         96
        .size:           8
        .value_kind:     by_value
      - .offset:         104
        .size:           8
        .value_kind:     by_value
      - .offset:         112
        .size:           8
        .value_kind:     by_value
    .group_segment_fixed_size: 0
    .kernarg_segment_align: 8
    .kernarg_segment_size: 120
    .language:       OpenCL C
    .language_version:
      - 2
      - 0
    .max_flat_workgroup_size: 256
    .name:           _ZL26rocblas_sger_gfx942_kernelILi256EdPKdPKS1_PKPdEviiT1_lT2_lllS8_lllT3_lll
    .private_segment_fixed_size: 0
    .sgpr_count:     0
    .sgpr_spill_count: 0
    .symbol:         _ZL26rocblas_sger_gfx942_kernelILi256EdPKdPKS1_PKPdEviiT1_lT2_lllS8_lllT3_lll.kd
    .uniform_work_group_size: 1
    .uses_dynamic_stack: false
    .vgpr_count:     0
    .vgpr_spill_count: 0
    .wavefront_size: 32
    .workgroup_processor_mode: 1
  - .args:
      - .offset:         0
        .size:           4
        .value_kind:     by_value
      - .offset:         4
        .size:           4
        .value_kind:     by_value
      - .offset:         8
        .size:           8
        .value_kind:     by_value
      - .offset:         16
        .size:           8
        .value_kind:     by_value
      - .address_space:  global
        .offset:         24
        .size:           8
        .value_kind:     global_buffer
      - .offset:         32
        .size:           8
        .value_kind:     by_value
      - .offset:         40
        .size:           8
        .value_kind:     by_value
      - .offset:         48
        .size:           8
        .value_kind:     by_value
      - .address_space:  global
        .offset:         56
        .size:           8
        .value_kind:     global_buffer
      - .offset:         64
        .size:           8
        .value_kind:     by_value
      - .offset:         72
        .size:           8
        .value_kind:     by_value
      - .offset:         80
        .size:           8
        .value_kind:     by_value
      - .address_space:  global
        .offset:         88
        .size:           8
        .value_kind:     global_buffer
      - .offset:         96
        .size:           8
        .value_kind:     by_value
      - .offset:         104
        .size:           8
        .value_kind:     by_value
      - .offset:         112
        .size:           8
        .value_kind:     by_value
    .group_segment_fixed_size: 0
    .kernarg_segment_align: 8
    .kernarg_segment_size: 120
    .language:       OpenCL C
    .language_version:
      - 2
      - 0
    .max_flat_workgroup_size: 256
    .name:           _ZL26rocblas_sger_gfx942_kernelILi256EddPKPKdPKPdEviiT1_lT2_lllS8_lllT3_lll
    .private_segment_fixed_size: 0
    .sgpr_count:     0
    .sgpr_spill_count: 0
    .symbol:         _ZL26rocblas_sger_gfx942_kernelILi256EddPKPKdPKPdEviiT1_lT2_lllS8_lllT3_lll.kd
    .uniform_work_group_size: 1
    .uses_dynamic_stack: false
    .vgpr_count:     0
    .vgpr_spill_count: 0
    .wavefront_size: 32
    .workgroup_processor_mode: 1
  - .args:
      - .offset:         0
        .size:           4
        .value_kind:     by_value
      - .offset:         4
        .size:           4
        .value_kind:     by_value
      - .address_space:  global
        .offset:         8
        .size:           8
        .value_kind:     global_buffer
      - .offset:         16
        .size:           8
        .value_kind:     by_value
      - .actual_access:  read_only
        .address_space:  global
        .offset:         24
        .size:           8
        .value_kind:     global_buffer
      - .offset:         32
        .size:           8
        .value_kind:     by_value
      - .offset:         40
        .size:           8
        .value_kind:     by_value
      - .offset:         48
        .size:           8
        .value_kind:     by_value
      - .actual_access:  read_only
        .address_space:  global
        .offset:         56
        .size:           8
        .value_kind:     global_buffer
      - .offset:         64
        .size:           8
        .value_kind:     by_value
      - .offset:         72
        .size:           8
        .value_kind:     by_value
      - .offset:         80
        .size:           8
        .value_kind:     by_value
      - .actual_access:  read_only
        .address_space:  global
        .offset:         88
        .size:           8
        .value_kind:     global_buffer
      - .offset:         96
        .size:           8
        .value_kind:     by_value
      - .offset:         104
        .size:           8
        .value_kind:     by_value
      - .offset:         112
        .size:           8
        .value_kind:     by_value
      - .offset:         120
        .size:           4
        .value_kind:     by_value
    .group_segment_fixed_size: 0
    .kernarg_segment_align: 8
    .kernarg_segment_size: 124
    .language:       OpenCL C
    .language_version:
      - 2
      - 0
    .max_flat_workgroup_size: 1024
    .name:           _ZL19rocblas_sger_kernelILi1024EdPKdPKS1_PKPdEviiT1_lT2_lllS8_lllT3_lmli
    .private_segment_fixed_size: 0
    .sgpr_count:     30
    .sgpr_spill_count: 0
    .symbol:         _ZL19rocblas_sger_kernelILi1024EdPKdPKS1_PKPdEviiT1_lT2_lllS8_lllT3_lmli.kd
    .uniform_work_group_size: 1
    .uses_dynamic_stack: false
    .vgpr_count:     11
    .vgpr_spill_count: 0
    .wavefront_size: 32
    .workgroup_processor_mode: 1
  - .args:
      - .offset:         0
        .size:           4
        .value_kind:     by_value
      - .offset:         4
        .size:           4
        .value_kind:     by_value
      - .offset:         8
        .size:           8
        .value_kind:     by_value
      - .offset:         16
        .size:           8
        .value_kind:     by_value
      - .actual_access:  read_only
        .address_space:  global
        .offset:         24
        .size:           8
        .value_kind:     global_buffer
      - .offset:         32
        .size:           8
        .value_kind:     by_value
      - .offset:         40
        .size:           8
        .value_kind:     by_value
      - .offset:         48
        .size:           8
        .value_kind:     by_value
      - .actual_access:  read_only
        .address_space:  global
        .offset:         56
        .size:           8
        .value_kind:     global_buffer
      - .offset:         64
        .size:           8
        .value_kind:     by_value
      - .offset:         72
        .size:           8
        .value_kind:     by_value
      - .offset:         80
        .size:           8
        .value_kind:     by_value
      - .actual_access:  read_only
        .address_space:  global
        .offset:         88
        .size:           8
        .value_kind:     global_buffer
      - .offset:         96
        .size:           8
        .value_kind:     by_value
      - .offset:         104
        .size:           8
        .value_kind:     by_value
      - .offset:         112
        .size:           8
        .value_kind:     by_value
      - .offset:         120
        .size:           4
        .value_kind:     by_value
    .group_segment_fixed_size: 0
    .kernarg_segment_align: 8
    .kernarg_segment_size: 124
    .language:       OpenCL C
    .language_version:
      - 2
      - 0
    .max_flat_workgroup_size: 1024
    .name:           _ZL19rocblas_sger_kernelILi1024EddPKPKdPKPdEviiT1_lT2_lllS8_lllT3_lmli
    .private_segment_fixed_size: 0
    .sgpr_count:     30
    .sgpr_spill_count: 0
    .symbol:         _ZL19rocblas_sger_kernelILi1024EddPKPKdPKPdEviiT1_lT2_lllS8_lllT3_lmli.kd
    .uniform_work_group_size: 1
    .uses_dynamic_stack: false
    .vgpr_count:     11
    .vgpr_spill_count: 0
    .wavefront_size: 32
    .workgroup_processor_mode: 1
  - .args:
      - .offset:         0
        .size:           4
        .value_kind:     by_value
      - .offset:         4
        .size:           4
        .value_kind:     by_value
      - .address_space:  global
        .offset:         8
        .size:           8
        .value_kind:     global_buffer
      - .offset:         16
        .size:           8
        .value_kind:     by_value
      - .actual_access:  read_only
        .address_space:  global
        .offset:         24
        .size:           8
        .value_kind:     global_buffer
      - .offset:         32
        .size:           8
        .value_kind:     by_value
      - .offset:         40
        .size:           8
        .value_kind:     by_value
      - .offset:         48
        .size:           8
        .value_kind:     by_value
      - .actual_access:  read_only
        .address_space:  global
        .offset:         56
        .size:           8
        .value_kind:     global_buffer
      - .offset:         64
        .size:           8
        .value_kind:     by_value
      - .offset:         72
        .size:           8
        .value_kind:     by_value
      - .offset:         80
        .size:           8
        .value_kind:     by_value
      - .actual_access:  read_only
        .address_space:  global
        .offset:         88
        .size:           8
        .value_kind:     global_buffer
      - .offset:         96
        .size:           8
        .value_kind:     by_value
      - .offset:         104
        .size:           8
        .value_kind:     by_value
      - .offset:         112
        .size:           8
        .value_kind:     by_value
      - .offset:         120
        .size:           4
        .value_kind:     by_value
    .group_segment_fixed_size: 768
    .kernarg_segment_align: 8
    .kernarg_segment_size: 124
    .language:       OpenCL C
    .language_version:
      - 2
      - 0
    .max_flat_workgroup_size: 1024
    .name:           _ZL18rocblas_ger_kernelILi32ELi32ELi2ELb0EdPKdPKS1_PKPdEviiT4_lT5_lllS8_lllT6_lmli
    .private_segment_fixed_size: 0
    .sgpr_count:     24
    .sgpr_spill_count: 0
    .symbol:         _ZL18rocblas_ger_kernelILi32ELi32ELi2ELb0EdPKdPKS1_PKPdEviiT4_lT5_lllS8_lllT6_lmli.kd
    .uniform_work_group_size: 1
    .uses_dynamic_stack: false
    .vgpr_count:     13
    .vgpr_spill_count: 0
    .wavefront_size: 32
    .workgroup_processor_mode: 1
  - .args:
      - .offset:         0
        .size:           4
        .value_kind:     by_value
      - .offset:         4
        .size:           4
        .value_kind:     by_value
      - .offset:         8
        .size:           8
        .value_kind:     by_value
      - .offset:         16
        .size:           8
        .value_kind:     by_value
      - .actual_access:  read_only
        .address_space:  global
        .offset:         24
        .size:           8
        .value_kind:     global_buffer
      - .offset:         32
        .size:           8
        .value_kind:     by_value
      - .offset:         40
        .size:           8
        .value_kind:     by_value
      - .offset:         48
        .size:           8
        .value_kind:     by_value
      - .actual_access:  read_only
        .address_space:  global
        .offset:         56
        .size:           8
        .value_kind:     global_buffer
      - .offset:         64
        .size:           8
        .value_kind:     by_value
      - .offset:         72
        .size:           8
        .value_kind:     by_value
      - .offset:         80
        .size:           8
        .value_kind:     by_value
      - .actual_access:  read_only
        .address_space:  global
        .offset:         88
        .size:           8
        .value_kind:     global_buffer
      - .offset:         96
        .size:           8
        .value_kind:     by_value
      - .offset:         104
        .size:           8
        .value_kind:     by_value
      - .offset:         112
        .size:           8
        .value_kind:     by_value
      - .offset:         120
        .size:           4
        .value_kind:     by_value
    .group_segment_fixed_size: 768
    .kernarg_segment_align: 8
    .kernarg_segment_size: 124
    .language:       OpenCL C
    .language_version:
      - 2
      - 0
    .max_flat_workgroup_size: 1024
    .name:           _ZL18rocblas_ger_kernelILi32ELi32ELi2ELb0EddPKPKdPKPdEviiT4_lT5_lllS8_lllT6_lmli
    .private_segment_fixed_size: 0
    .sgpr_count:     24
    .sgpr_spill_count: 0
    .symbol:         _ZL18rocblas_ger_kernelILi32ELi32ELi2ELb0EddPKPKdPKPdEviiT4_lT5_lllS8_lllT6_lmli.kd
    .uniform_work_group_size: 1
    .uses_dynamic_stack: false
    .vgpr_count:     13
    .vgpr_spill_count: 0
    .wavefront_size: 32
    .workgroup_processor_mode: 1
  - .args:
      - .offset:         0
        .size:           1
        .value_kind:     by_value
      - .offset:         4
        .size:           4
        .value_kind:     by_value
      - .offset:         8
        .size:           4
        .value_kind:     by_value
      - .offset:         16
        .size:           8
        .value_kind:     by_value
      - .offset:         24
        .size:           8
        .value_kind:     by_value
      - .actual_access:  read_only
        .address_space:  global
        .offset:         32
        .size:           8
        .value_kind:     global_buffer
      - .offset:         40
        .size:           8
        .value_kind:     by_value
      - .offset:         48
        .size:           8
        .value_kind:     by_value
      - .offset:         56
        .size:           8
        .value_kind:     by_value
      - .actual_access:  read_only
        .address_space:  global
        .offset:         64
        .size:           8
        .value_kind:     global_buffer
      - .offset:         72
        .size:           8
        .value_kind:     by_value
      - .offset:         80
        .size:           8
        .value_kind:     by_value
      - .offset:         88
        .size:           8
        .value_kind:     by_value
      - .actual_access:  read_only
        .address_space:  global
        .offset:         96
        .size:           8
        .value_kind:     global_buffer
      - .offset:         104
        .size:           8
        .value_kind:     by_value
      - .offset:         112
        .size:           8
        .value_kind:     by_value
      - .offset:         120
        .size:           8
        .value_kind:     by_value
      - .offset:         128
        .size:           4
        .value_kind:     by_value
    .group_segment_fixed_size: 0
    .kernarg_segment_align: 8
    .kernarg_segment_size: 132
    .language:       OpenCL C
    .language_version:
      - 2
      - 0
    .max_flat_workgroup_size: 1024
    .name:           _ZL34rocblas_ger_double_buffered_kernelILb0ELi64ELi16ELi2E19rocblas_complex_numIfE24rocblas_internal_val_ptrIS1_EPKPKS1_PKPS1_EvbiiT4_lT5_lllSC_lllT6_lmli
    .private_segment_fixed_size: 0
    .sgpr_count:     28
    .sgpr_spill_count: 0
    .symbol:         _ZL34rocblas_ger_double_buffered_kernelILb0ELi64ELi16ELi2E19rocblas_complex_numIfE24rocblas_internal_val_ptrIS1_EPKPKS1_PKPS1_EvbiiT4_lT5_lllSC_lllT6_lmli.kd
    .uniform_work_group_size: 1
    .uses_dynamic_stack: false
    .vgpr_count:     26
    .vgpr_spill_count: 0
    .wavefront_size: 32
    .workgroup_processor_mode: 1
  - .args:
      - .offset:         0
        .size:           4
        .value_kind:     by_value
      - .offset:         4
        .size:           4
        .value_kind:     by_value
      - .address_space:  global
        .offset:         8
        .size:           8
        .value_kind:     global_buffer
      - .offset:         16
        .size:           8
        .value_kind:     by_value
      - .address_space:  global
        .offset:         24
        .size:           8
        .value_kind:     global_buffer
      - .offset:         32
        .size:           8
        .value_kind:     by_value
      - .offset:         40
        .size:           8
        .value_kind:     by_value
      - .offset:         48
        .size:           8
        .value_kind:     by_value
      - .address_space:  global
        .offset:         56
        .size:           8
        .value_kind:     global_buffer
      - .offset:         64
        .size:           8
        .value_kind:     by_value
      - .offset:         72
        .size:           8
        .value_kind:     by_value
      - .offset:         80
        .size:           8
        .value_kind:     by_value
      - .address_space:  global
        .offset:         88
        .size:           8
        .value_kind:     global_buffer
      - .offset:         96
        .size:           8
        .value_kind:     by_value
      - .offset:         104
        .size:           8
        .value_kind:     by_value
      - .offset:         112
        .size:           8
        .value_kind:     by_value
    .group_segment_fixed_size: 0
    .kernarg_segment_align: 8
    .kernarg_segment_size: 120
    .language:       OpenCL C
    .language_version:
      - 2
      - 0
    .max_flat_workgroup_size: 256
    .name:           _ZL26rocblas_sger_gfx942_kernelILi256E19rocblas_complex_numIfEPKS1_PKS3_PKPS1_EviiT1_lT2_lllSA_lllT3_lll
    .private_segment_fixed_size: 0
    .sgpr_count:     0
    .sgpr_spill_count: 0
    .symbol:         _ZL26rocblas_sger_gfx942_kernelILi256E19rocblas_complex_numIfEPKS1_PKS3_PKPS1_EviiT1_lT2_lllSA_lllT3_lll.kd
    .uniform_work_group_size: 1
    .uses_dynamic_stack: false
    .vgpr_count:     0
    .vgpr_spill_count: 0
    .wavefront_size: 32
    .workgroup_processor_mode: 1
  - .args:
      - .offset:         0
        .size:           4
        .value_kind:     by_value
      - .offset:         4
        .size:           4
        .value_kind:     by_value
      - .offset:         8
        .size:           8
        .value_kind:     by_value
      - .offset:         16
        .size:           8
        .value_kind:     by_value
      - .address_space:  global
        .offset:         24
        .size:           8
        .value_kind:     global_buffer
      - .offset:         32
        .size:           8
        .value_kind:     by_value
      - .offset:         40
        .size:           8
        .value_kind:     by_value
      - .offset:         48
        .size:           8
        .value_kind:     by_value
      - .address_space:  global
        .offset:         56
        .size:           8
        .value_kind:     global_buffer
      - .offset:         64
        .size:           8
        .value_kind:     by_value
      - .offset:         72
        .size:           8
        .value_kind:     by_value
      - .offset:         80
        .size:           8
        .value_kind:     by_value
      - .address_space:  global
        .offset:         88
        .size:           8
        .value_kind:     global_buffer
      - .offset:         96
        .size:           8
        .value_kind:     by_value
      - .offset:         104
        .size:           8
        .value_kind:     by_value
      - .offset:         112
        .size:           8
        .value_kind:     by_value
    .group_segment_fixed_size: 0
    .kernarg_segment_align: 8
    .kernarg_segment_size: 120
    .language:       OpenCL C
    .language_version:
      - 2
      - 0
    .max_flat_workgroup_size: 256
    .name:           _ZL26rocblas_sger_gfx942_kernelILi256E19rocblas_complex_numIfES1_PKPKS1_PKPS1_EviiT1_lT2_lllSA_lllT3_lll
    .private_segment_fixed_size: 0
    .sgpr_count:     0
    .sgpr_spill_count: 0
    .symbol:         _ZL26rocblas_sger_gfx942_kernelILi256E19rocblas_complex_numIfES1_PKPKS1_PKPS1_EviiT1_lT2_lllSA_lllT3_lll.kd
    .uniform_work_group_size: 1
    .uses_dynamic_stack: false
    .vgpr_count:     0
    .vgpr_spill_count: 0
    .wavefront_size: 32
    .workgroup_processor_mode: 1
  - .args:
      - .offset:         0
        .size:           4
        .value_kind:     by_value
      - .offset:         4
        .size:           4
        .value_kind:     by_value
      - .address_space:  global
        .offset:         8
        .size:           8
        .value_kind:     global_buffer
      - .offset:         16
        .size:           8
        .value_kind:     by_value
      - .actual_access:  read_only
        .address_space:  global
        .offset:         24
        .size:           8
        .value_kind:     global_buffer
      - .offset:         32
        .size:           8
        .value_kind:     by_value
      - .offset:         40
        .size:           8
        .value_kind:     by_value
      - .offset:         48
        .size:           8
        .value_kind:     by_value
      - .actual_access:  read_only
        .address_space:  global
        .offset:         56
        .size:           8
        .value_kind:     global_buffer
      - .offset:         64
        .size:           8
        .value_kind:     by_value
      - .offset:         72
        .size:           8
        .value_kind:     by_value
      - .offset:         80
        .size:           8
        .value_kind:     by_value
      - .actual_access:  read_only
        .address_space:  global
        .offset:         88
        .size:           8
        .value_kind:     global_buffer
      - .offset:         96
        .size:           8
        .value_kind:     by_value
      - .offset:         104
        .size:           8
        .value_kind:     by_value
      - .offset:         112
        .size:           8
        .value_kind:     by_value
      - .offset:         120
        .size:           4
        .value_kind:     by_value
    .group_segment_fixed_size: 0
    .kernarg_segment_align: 8
    .kernarg_segment_size: 124
    .language:       OpenCL C
    .language_version:
      - 2
      - 0
    .max_flat_workgroup_size: 1024
    .name:           _ZL19rocblas_sger_kernelILi1024E19rocblas_complex_numIfEPKS1_PKS3_PKPS1_EviiT1_lT2_lllSA_lllT3_lmli
    .private_segment_fixed_size: 0
    .sgpr_count:     29
    .sgpr_spill_count: 0
    .symbol:         _ZL19rocblas_sger_kernelILi1024E19rocblas_complex_numIfEPKS1_PKS3_PKPS1_EviiT1_lT2_lllSA_lllT3_lmli.kd
    .uniform_work_group_size: 1
    .uses_dynamic_stack: false
    .vgpr_count:     12
    .vgpr_spill_count: 0
    .wavefront_size: 32
    .workgroup_processor_mode: 1
  - .args:
      - .offset:         0
        .size:           4
        .value_kind:     by_value
      - .offset:         4
        .size:           4
        .value_kind:     by_value
      - .offset:         8
        .size:           8
        .value_kind:     by_value
      - .offset:         16
        .size:           8
        .value_kind:     by_value
      - .actual_access:  read_only
        .address_space:  global
        .offset:         24
        .size:           8
        .value_kind:     global_buffer
      - .offset:         32
        .size:           8
        .value_kind:     by_value
      - .offset:         40
        .size:           8
        .value_kind:     by_value
      - .offset:         48
        .size:           8
        .value_kind:     by_value
      - .actual_access:  read_only
        .address_space:  global
        .offset:         56
        .size:           8
        .value_kind:     global_buffer
      - .offset:         64
        .size:           8
        .value_kind:     by_value
      - .offset:         72
        .size:           8
        .value_kind:     by_value
      - .offset:         80
        .size:           8
        .value_kind:     by_value
      - .actual_access:  read_only
        .address_space:  global
        .offset:         88
        .size:           8
        .value_kind:     global_buffer
      - .offset:         96
        .size:           8
        .value_kind:     by_value
      - .offset:         104
        .size:           8
        .value_kind:     by_value
      - .offset:         112
        .size:           8
        .value_kind:     by_value
      - .offset:         120
        .size:           4
        .value_kind:     by_value
    .group_segment_fixed_size: 0
    .kernarg_segment_align: 8
    .kernarg_segment_size: 124
    .language:       OpenCL C
    .language_version:
      - 2
      - 0
    .max_flat_workgroup_size: 1024
    .name:           _ZL19rocblas_sger_kernelILi1024E19rocblas_complex_numIfES1_PKPKS1_PKPS1_EviiT1_lT2_lllSA_lllT3_lmli
    .private_segment_fixed_size: 0
    .sgpr_count:     32
    .sgpr_spill_count: 0
    .symbol:         _ZL19rocblas_sger_kernelILi1024E19rocblas_complex_numIfES1_PKPKS1_PKPS1_EviiT1_lT2_lllSA_lllT3_lmli.kd
    .uniform_work_group_size: 1
    .uses_dynamic_stack: false
    .vgpr_count:     12
    .vgpr_spill_count: 0
    .wavefront_size: 32
    .workgroup_processor_mode: 1
  - .args:
      - .offset:         0
        .size:           4
        .value_kind:     by_value
      - .offset:         4
        .size:           4
        .value_kind:     by_value
      - .address_space:  global
        .offset:         8
        .size:           8
        .value_kind:     global_buffer
      - .offset:         16
        .size:           8
        .value_kind:     by_value
      - .actual_access:  read_only
        .address_space:  global
        .offset:         24
        .size:           8
        .value_kind:     global_buffer
      - .offset:         32
        .size:           8
        .value_kind:     by_value
      - .offset:         40
        .size:           8
        .value_kind:     by_value
      - .offset:         48
        .size:           8
        .value_kind:     by_value
      - .actual_access:  read_only
        .address_space:  global
        .offset:         56
        .size:           8
        .value_kind:     global_buffer
      - .offset:         64
        .size:           8
        .value_kind:     by_value
      - .offset:         72
        .size:           8
        .value_kind:     by_value
      - .offset:         80
        .size:           8
        .value_kind:     by_value
      - .actual_access:  read_only
        .address_space:  global
        .offset:         88
        .size:           8
        .value_kind:     global_buffer
      - .offset:         96
        .size:           8
        .value_kind:     by_value
      - .offset:         104
        .size:           8
        .value_kind:     by_value
      - .offset:         112
        .size:           8
        .value_kind:     by_value
      - .offset:         120
        .size:           4
        .value_kind:     by_value
    .group_segment_fixed_size: 768
    .kernarg_segment_align: 8
    .kernarg_segment_size: 124
    .language:       OpenCL C
    .language_version:
      - 2
      - 0
    .max_flat_workgroup_size: 1024
    .name:           _ZL18rocblas_ger_kernelILi32ELi32ELi2ELb0E19rocblas_complex_numIfEPKS1_PKS3_PKPS1_EviiT4_lT5_lllSA_lllT6_lmli
    .private_segment_fixed_size: 0
    .sgpr_count:     24
    .sgpr_spill_count: 0
    .symbol:         _ZL18rocblas_ger_kernelILi32ELi32ELi2ELb0E19rocblas_complex_numIfEPKS1_PKS3_PKPS1_EviiT4_lT5_lllSA_lllT6_lmli.kd
    .uniform_work_group_size: 1
    .uses_dynamic_stack: false
    .vgpr_count:     13
    .vgpr_spill_count: 0
    .wavefront_size: 32
    .workgroup_processor_mode: 1
  - .args:
      - .offset:         0
        .size:           4
        .value_kind:     by_value
      - .offset:         4
        .size:           4
        .value_kind:     by_value
      - .offset:         8
        .size:           8
        .value_kind:     by_value
      - .offset:         16
        .size:           8
        .value_kind:     by_value
      - .actual_access:  read_only
        .address_space:  global
        .offset:         24
        .size:           8
        .value_kind:     global_buffer
      - .offset:         32
        .size:           8
        .value_kind:     by_value
      - .offset:         40
        .size:           8
        .value_kind:     by_value
      - .offset:         48
        .size:           8
        .value_kind:     by_value
      - .actual_access:  read_only
        .address_space:  global
        .offset:         56
        .size:           8
        .value_kind:     global_buffer
      - .offset:         64
        .size:           8
        .value_kind:     by_value
      - .offset:         72
        .size:           8
        .value_kind:     by_value
      - .offset:         80
        .size:           8
        .value_kind:     by_value
      - .actual_access:  read_only
        .address_space:  global
        .offset:         88
        .size:           8
        .value_kind:     global_buffer
      - .offset:         96
        .size:           8
        .value_kind:     by_value
      - .offset:         104
        .size:           8
        .value_kind:     by_value
      - .offset:         112
        .size:           8
        .value_kind:     by_value
      - .offset:         120
        .size:           4
        .value_kind:     by_value
    .group_segment_fixed_size: 768
    .kernarg_segment_align: 8
    .kernarg_segment_size: 124
    .language:       OpenCL C
    .language_version:
      - 2
      - 0
    .max_flat_workgroup_size: 1024
    .name:           _ZL18rocblas_ger_kernelILi32ELi32ELi2ELb0E19rocblas_complex_numIfES1_PKPKS1_PKPS1_EviiT4_lT5_lllSA_lllT6_lmli
    .private_segment_fixed_size: 0
    .sgpr_count:     24
    .sgpr_spill_count: 0
    .symbol:         _ZL18rocblas_ger_kernelILi32ELi32ELi2ELb0E19rocblas_complex_numIfES1_PKPKS1_PKPS1_EviiT4_lT5_lllSA_lllT6_lmli.kd
    .uniform_work_group_size: 1
    .uses_dynamic_stack: false
    .vgpr_count:     13
    .vgpr_spill_count: 0
    .wavefront_size: 32
    .workgroup_processor_mode: 1
  - .args:
      - .offset:         0
        .size:           1
        .value_kind:     by_value
      - .offset:         4
        .size:           4
        .value_kind:     by_value
      - .offset:         8
        .size:           4
        .value_kind:     by_value
      - .offset:         16
        .size:           16
        .value_kind:     by_value
      - .offset:         32
        .size:           8
        .value_kind:     by_value
      - .actual_access:  read_only
        .address_space:  global
        .offset:         40
        .size:           8
        .value_kind:     global_buffer
      - .offset:         48
        .size:           8
        .value_kind:     by_value
      - .offset:         56
        .size:           8
        .value_kind:     by_value
      - .offset:         64
        .size:           8
        .value_kind:     by_value
      - .actual_access:  read_only
        .address_space:  global
        .offset:         72
        .size:           8
        .value_kind:     global_buffer
      - .offset:         80
        .size:           8
        .value_kind:     by_value
      - .offset:         88
        .size:           8
        .value_kind:     by_value
      - .offset:         96
        .size:           8
        .value_kind:     by_value
      - .actual_access:  read_only
        .address_space:  global
        .offset:         104
        .size:           8
        .value_kind:     global_buffer
      - .offset:         112
        .size:           8
        .value_kind:     by_value
      - .offset:         120
        .size:           8
        .value_kind:     by_value
      - .offset:         128
        .size:           8
        .value_kind:     by_value
      - .offset:         136
        .size:           4
        .value_kind:     by_value
    .group_segment_fixed_size: 0
    .kernarg_segment_align: 8
    .kernarg_segment_size: 140
    .language:       OpenCL C
    .language_version:
      - 2
      - 0
    .max_flat_workgroup_size: 1024
    .name:           _ZL34rocblas_ger_double_buffered_kernelILb0ELi64ELi16ELi2E19rocblas_complex_numIdE24rocblas_internal_val_ptrIS1_EPKPKS1_PKPS1_EvbiiT4_lT5_lllSC_lllT6_lmli
    .private_segment_fixed_size: 0
    .sgpr_count:     26
    .sgpr_spill_count: 0
    .symbol:         _ZL34rocblas_ger_double_buffered_kernelILb0ELi64ELi16ELi2E19rocblas_complex_numIdE24rocblas_internal_val_ptrIS1_EPKPKS1_PKPS1_EvbiiT4_lT5_lllSC_lllT6_lmli.kd
    .uniform_work_group_size: 1
    .uses_dynamic_stack: false
    .vgpr_count:     49
    .vgpr_spill_count: 0
    .wavefront_size: 32
    .workgroup_processor_mode: 1
  - .args:
      - .offset:         0
        .size:           4
        .value_kind:     by_value
      - .offset:         4
        .size:           4
        .value_kind:     by_value
      - .address_space:  global
        .offset:         8
        .size:           8
        .value_kind:     global_buffer
      - .offset:         16
        .size:           8
        .value_kind:     by_value
      - .address_space:  global
        .offset:         24
        .size:           8
        .value_kind:     global_buffer
      - .offset:         32
        .size:           8
        .value_kind:     by_value
      - .offset:         40
        .size:           8
        .value_kind:     by_value
      - .offset:         48
        .size:           8
        .value_kind:     by_value
      - .address_space:  global
        .offset:         56
        .size:           8
        .value_kind:     global_buffer
      - .offset:         64
        .size:           8
        .value_kind:     by_value
      - .offset:         72
        .size:           8
        .value_kind:     by_value
      - .offset:         80
        .size:           8
        .value_kind:     by_value
      - .address_space:  global
        .offset:         88
        .size:           8
        .value_kind:     global_buffer
      - .offset:         96
        .size:           8
        .value_kind:     by_value
      - .offset:         104
        .size:           8
        .value_kind:     by_value
      - .offset:         112
        .size:           8
        .value_kind:     by_value
    .group_segment_fixed_size: 0
    .kernarg_segment_align: 8
    .kernarg_segment_size: 120
    .language:       OpenCL C
    .language_version:
      - 2
      - 0
    .max_flat_workgroup_size: 256
    .name:           _ZL26rocblas_sger_gfx942_kernelILi256E19rocblas_complex_numIdEPKS1_PKS3_PKPS1_EviiT1_lT2_lllSA_lllT3_lll
    .private_segment_fixed_size: 0
    .sgpr_count:     0
    .sgpr_spill_count: 0
    .symbol:         _ZL26rocblas_sger_gfx942_kernelILi256E19rocblas_complex_numIdEPKS1_PKS3_PKPS1_EviiT1_lT2_lllSA_lllT3_lll.kd
    .uniform_work_group_size: 1
    .uses_dynamic_stack: false
    .vgpr_count:     0
    .vgpr_spill_count: 0
    .wavefront_size: 32
    .workgroup_processor_mode: 1
  - .args:
      - .offset:         0
        .size:           4
        .value_kind:     by_value
      - .offset:         4
        .size:           4
        .value_kind:     by_value
      - .offset:         8
        .size:           16
        .value_kind:     by_value
      - .offset:         24
        .size:           8
        .value_kind:     by_value
      - .address_space:  global
        .offset:         32
        .size:           8
        .value_kind:     global_buffer
      - .offset:         40
        .size:           8
        .value_kind:     by_value
      - .offset:         48
        .size:           8
        .value_kind:     by_value
      - .offset:         56
        .size:           8
        .value_kind:     by_value
      - .address_space:  global
        .offset:         64
        .size:           8
        .value_kind:     global_buffer
      - .offset:         72
        .size:           8
        .value_kind:     by_value
      - .offset:         80
        .size:           8
        .value_kind:     by_value
      - .offset:         88
        .size:           8
        .value_kind:     by_value
      - .address_space:  global
        .offset:         96
        .size:           8
        .value_kind:     global_buffer
      - .offset:         104
        .size:           8
        .value_kind:     by_value
      - .offset:         112
        .size:           8
        .value_kind:     by_value
      - .offset:         120
        .size:           8
        .value_kind:     by_value
    .group_segment_fixed_size: 0
    .kernarg_segment_align: 8
    .kernarg_segment_size: 128
    .language:       OpenCL C
    .language_version:
      - 2
      - 0
    .max_flat_workgroup_size: 256
    .name:           _ZL26rocblas_sger_gfx942_kernelILi256E19rocblas_complex_numIdES1_PKPKS1_PKPS1_EviiT1_lT2_lllSA_lllT3_lll
    .private_segment_fixed_size: 0
    .sgpr_count:     0
    .sgpr_spill_count: 0
    .symbol:         _ZL26rocblas_sger_gfx942_kernelILi256E19rocblas_complex_numIdES1_PKPKS1_PKPS1_EviiT1_lT2_lllSA_lllT3_lll.kd
    .uniform_work_group_size: 1
    .uses_dynamic_stack: false
    .vgpr_count:     0
    .vgpr_spill_count: 0
    .wavefront_size: 32
    .workgroup_processor_mode: 1
  - .args:
      - .offset:         0
        .size:           4
        .value_kind:     by_value
      - .offset:         4
        .size:           4
        .value_kind:     by_value
      - .address_space:  global
        .offset:         8
        .size:           8
        .value_kind:     global_buffer
      - .offset:         16
        .size:           8
        .value_kind:     by_value
      - .actual_access:  read_only
        .address_space:  global
        .offset:         24
        .size:           8
        .value_kind:     global_buffer
      - .offset:         32
        .size:           8
        .value_kind:     by_value
      - .offset:         40
        .size:           8
        .value_kind:     by_value
      - .offset:         48
        .size:           8
        .value_kind:     by_value
      - .actual_access:  read_only
        .address_space:  global
        .offset:         56
        .size:           8
        .value_kind:     global_buffer
      - .offset:         64
        .size:           8
        .value_kind:     by_value
      - .offset:         72
        .size:           8
        .value_kind:     by_value
      - .offset:         80
        .size:           8
        .value_kind:     by_value
      - .actual_access:  read_only
        .address_space:  global
        .offset:         88
        .size:           8
        .value_kind:     global_buffer
      - .offset:         96
        .size:           8
        .value_kind:     by_value
      - .offset:         104
        .size:           8
        .value_kind:     by_value
      - .offset:         112
        .size:           8
        .value_kind:     by_value
      - .offset:         120
        .size:           4
        .value_kind:     by_value
    .group_segment_fixed_size: 0
    .kernarg_segment_align: 8
    .kernarg_segment_size: 124
    .language:       OpenCL C
    .language_version:
      - 2
      - 0
    .max_flat_workgroup_size: 1024
    .name:           _ZL19rocblas_sger_kernelILi1024E19rocblas_complex_numIdEPKS1_PKS3_PKPS1_EviiT1_lT2_lllSA_lllT3_lmli
    .private_segment_fixed_size: 0
    .sgpr_count:     32
    .sgpr_spill_count: 0
    .symbol:         _ZL19rocblas_sger_kernelILi1024E19rocblas_complex_numIdEPKS1_PKS3_PKPS1_EviiT1_lT2_lllSA_lllT3_lmli.kd
    .uniform_work_group_size: 1
    .uses_dynamic_stack: false
    .vgpr_count:     19
    .vgpr_spill_count: 0
    .wavefront_size: 32
    .workgroup_processor_mode: 1
  - .args:
      - .offset:         0
        .size:           4
        .value_kind:     by_value
      - .offset:         4
        .size:           4
        .value_kind:     by_value
      - .offset:         8
        .size:           16
        .value_kind:     by_value
      - .offset:         24
        .size:           8
        .value_kind:     by_value
      - .actual_access:  read_only
        .address_space:  global
        .offset:         32
        .size:           8
        .value_kind:     global_buffer
      - .offset:         40
        .size:           8
        .value_kind:     by_value
      - .offset:         48
        .size:           8
        .value_kind:     by_value
      - .offset:         56
        .size:           8
        .value_kind:     by_value
      - .actual_access:  read_only
        .address_space:  global
        .offset:         64
        .size:           8
        .value_kind:     global_buffer
      - .offset:         72
        .size:           8
        .value_kind:     by_value
      - .offset:         80
        .size:           8
        .value_kind:     by_value
      - .offset:         88
        .size:           8
        .value_kind:     by_value
      - .actual_access:  read_only
        .address_space:  global
        .offset:         96
        .size:           8
        .value_kind:     global_buffer
      - .offset:         104
        .size:           8
        .value_kind:     by_value
      - .offset:         112
        .size:           8
        .value_kind:     by_value
      - .offset:         120
        .size:           8
        .value_kind:     by_value
      - .offset:         128
        .size:           4
        .value_kind:     by_value
    .group_segment_fixed_size: 0
    .kernarg_segment_align: 8
    .kernarg_segment_size: 132
    .language:       OpenCL C
    .language_version:
      - 2
      - 0
    .max_flat_workgroup_size: 1024
    .name:           _ZL19rocblas_sger_kernelILi1024E19rocblas_complex_numIdES1_PKPKS1_PKPS1_EviiT1_lT2_lllSA_lllT3_lmli
    .private_segment_fixed_size: 0
    .sgpr_count:     32
    .sgpr_spill_count: 0
    .symbol:         _ZL19rocblas_sger_kernelILi1024E19rocblas_complex_numIdES1_PKPKS1_PKPS1_EviiT1_lT2_lllSA_lllT3_lmli.kd
    .uniform_work_group_size: 1
    .uses_dynamic_stack: false
    .vgpr_count:     19
    .vgpr_spill_count: 0
    .wavefront_size: 32
    .workgroup_processor_mode: 1
  - .args:
      - .offset:         0
        .size:           4
        .value_kind:     by_value
      - .offset:         4
        .size:           4
        .value_kind:     by_value
      - .address_space:  global
        .offset:         8
        .size:           8
        .value_kind:     global_buffer
      - .offset:         16
        .size:           8
        .value_kind:     by_value
      - .actual_access:  read_only
        .address_space:  global
        .offset:         24
        .size:           8
        .value_kind:     global_buffer
      - .offset:         32
        .size:           8
        .value_kind:     by_value
      - .offset:         40
        .size:           8
        .value_kind:     by_value
      - .offset:         48
        .size:           8
        .value_kind:     by_value
      - .actual_access:  read_only
        .address_space:  global
        .offset:         56
        .size:           8
        .value_kind:     global_buffer
      - .offset:         64
        .size:           8
        .value_kind:     by_value
      - .offset:         72
        .size:           8
        .value_kind:     by_value
      - .offset:         80
        .size:           8
        .value_kind:     by_value
      - .actual_access:  read_only
        .address_space:  global
        .offset:         88
        .size:           8
        .value_kind:     global_buffer
      - .offset:         96
        .size:           8
        .value_kind:     by_value
      - .offset:         104
        .size:           8
        .value_kind:     by_value
      - .offset:         112
        .size:           8
        .value_kind:     by_value
      - .offset:         120
        .size:           4
        .value_kind:     by_value
    .group_segment_fixed_size: 1536
    .kernarg_segment_align: 8
    .kernarg_segment_size: 124
    .language:       OpenCL C
    .language_version:
      - 2
      - 0
    .max_flat_workgroup_size: 1024
    .name:           _ZL18rocblas_ger_kernelILi32ELi32ELi2ELb0E19rocblas_complex_numIdEPKS1_PKS3_PKPS1_EviiT4_lT5_lllSA_lllT6_lmli
    .private_segment_fixed_size: 0
    .sgpr_count:     26
    .sgpr_spill_count: 0
    .symbol:         _ZL18rocblas_ger_kernelILi32ELi32ELi2ELb0E19rocblas_complex_numIdEPKS1_PKS3_PKPS1_EviiT4_lT5_lllSA_lllT6_lmli.kd
    .uniform_work_group_size: 1
    .uses_dynamic_stack: false
    .vgpr_count:     21
    .vgpr_spill_count: 0
    .wavefront_size: 32
    .workgroup_processor_mode: 1
  - .args:
      - .offset:         0
        .size:           4
        .value_kind:     by_value
      - .offset:         4
        .size:           4
        .value_kind:     by_value
      - .offset:         8
        .size:           16
        .value_kind:     by_value
      - .offset:         24
        .size:           8
        .value_kind:     by_value
      - .actual_access:  read_only
        .address_space:  global
        .offset:         32
        .size:           8
        .value_kind:     global_buffer
      - .offset:         40
        .size:           8
        .value_kind:     by_value
      - .offset:         48
        .size:           8
        .value_kind:     by_value
      - .offset:         56
        .size:           8
        .value_kind:     by_value
      - .actual_access:  read_only
        .address_space:  global
        .offset:         64
        .size:           8
        .value_kind:     global_buffer
      - .offset:         72
        .size:           8
        .value_kind:     by_value
      - .offset:         80
        .size:           8
        .value_kind:     by_value
      - .offset:         88
        .size:           8
        .value_kind:     by_value
      - .actual_access:  read_only
        .address_space:  global
        .offset:         96
        .size:           8
        .value_kind:     global_buffer
      - .offset:         104
        .size:           8
        .value_kind:     by_value
      - .offset:         112
        .size:           8
        .value_kind:     by_value
      - .offset:         120
        .size:           8
        .value_kind:     by_value
      - .offset:         128
        .size:           4
        .value_kind:     by_value
    .group_segment_fixed_size: 1536
    .kernarg_segment_align: 8
    .kernarg_segment_size: 132
    .language:       OpenCL C
    .language_version:
      - 2
      - 0
    .max_flat_workgroup_size: 1024
    .name:           _ZL18rocblas_ger_kernelILi32ELi32ELi2ELb0E19rocblas_complex_numIdES1_PKPKS1_PKPS1_EviiT4_lT5_lllSA_lllT6_lmli
    .private_segment_fixed_size: 0
    .sgpr_count:     26
    .sgpr_spill_count: 0
    .symbol:         _ZL18rocblas_ger_kernelILi32ELi32ELi2ELb0E19rocblas_complex_numIdES1_PKPKS1_PKPS1_EviiT4_lT5_lllSA_lllT6_lmli.kd
    .uniform_work_group_size: 1
    .uses_dynamic_stack: false
    .vgpr_count:     21
    .vgpr_spill_count: 0
    .wavefront_size: 32
    .workgroup_processor_mode: 1
  - .args:
      - .offset:         0
        .size:           1
        .value_kind:     by_value
      - .offset:         4
        .size:           4
        .value_kind:     by_value
      - .offset:         8
        .size:           4
        .value_kind:     by_value
      - .offset:         16
        .size:           8
        .value_kind:     by_value
      - .offset:         24
        .size:           8
        .value_kind:     by_value
      - .actual_access:  read_only
        .address_space:  global
        .offset:         32
        .size:           8
        .value_kind:     global_buffer
      - .offset:         40
        .size:           8
        .value_kind:     by_value
      - .offset:         48
        .size:           8
        .value_kind:     by_value
      - .offset:         56
        .size:           8
        .value_kind:     by_value
      - .actual_access:  read_only
        .address_space:  global
        .offset:         64
        .size:           8
        .value_kind:     global_buffer
      - .offset:         72
        .size:           8
        .value_kind:     by_value
      - .offset:         80
        .size:           8
        .value_kind:     by_value
      - .offset:         88
        .size:           8
        .value_kind:     by_value
      - .actual_access:  read_only
        .address_space:  global
        .offset:         96
        .size:           8
        .value_kind:     global_buffer
      - .offset:         104
        .size:           8
        .value_kind:     by_value
      - .offset:         112
        .size:           8
        .value_kind:     by_value
      - .offset:         120
        .size:           8
        .value_kind:     by_value
      - .offset:         128
        .size:           4
        .value_kind:     by_value
    .group_segment_fixed_size: 0
    .kernarg_segment_align: 8
    .kernarg_segment_size: 132
    .language:       OpenCL C
    .language_version:
      - 2
      - 0
    .max_flat_workgroup_size: 1024
    .name:           _ZL34rocblas_ger_double_buffered_kernelILb1ELi64ELi16ELi2E19rocblas_complex_numIfE24rocblas_internal_val_ptrIS1_EPKPKS1_PKPS1_EvbiiT4_lT5_lllSC_lllT6_lmli
    .private_segment_fixed_size: 0
    .sgpr_count:     28
    .sgpr_spill_count: 0
    .symbol:         _ZL34rocblas_ger_double_buffered_kernelILb1ELi64ELi16ELi2E19rocblas_complex_numIfE24rocblas_internal_val_ptrIS1_EPKPKS1_PKPS1_EvbiiT4_lT5_lllSC_lllT6_lmli.kd
    .uniform_work_group_size: 1
    .uses_dynamic_stack: false
    .vgpr_count:     26
    .vgpr_spill_count: 0
    .wavefront_size: 32
    .workgroup_processor_mode: 1
  - .args:
      - .offset:         0
        .size:           4
        .value_kind:     by_value
      - .offset:         4
        .size:           4
        .value_kind:     by_value
      - .address_space:  global
        .offset:         8
        .size:           8
        .value_kind:     global_buffer
      - .offset:         16
        .size:           8
        .value_kind:     by_value
      - .actual_access:  read_only
        .address_space:  global
        .offset:         24
        .size:           8
        .value_kind:     global_buffer
      - .offset:         32
        .size:           8
        .value_kind:     by_value
      - .offset:         40
        .size:           8
        .value_kind:     by_value
      - .offset:         48
        .size:           8
        .value_kind:     by_value
      - .actual_access:  read_only
        .address_space:  global
        .offset:         56
        .size:           8
        .value_kind:     global_buffer
      - .offset:         64
        .size:           8
        .value_kind:     by_value
      - .offset:         72
        .size:           8
        .value_kind:     by_value
      - .offset:         80
        .size:           8
        .value_kind:     by_value
      - .actual_access:  read_only
        .address_space:  global
        .offset:         88
        .size:           8
        .value_kind:     global_buffer
      - .offset:         96
        .size:           8
        .value_kind:     by_value
      - .offset:         104
        .size:           8
        .value_kind:     by_value
      - .offset:         112
        .size:           8
        .value_kind:     by_value
      - .offset:         120
        .size:           4
        .value_kind:     by_value
    .group_segment_fixed_size: 768
    .kernarg_segment_align: 8
    .kernarg_segment_size: 124
    .language:       OpenCL C
    .language_version:
      - 2
      - 0
    .max_flat_workgroup_size: 1024
    .name:           _ZL18rocblas_ger_kernelILi32ELi32ELi2ELb1E19rocblas_complex_numIfEPKS1_PKS3_PKPS1_EviiT4_lT5_lllSA_lllT6_lmli
    .private_segment_fixed_size: 0
    .sgpr_count:     24
    .sgpr_spill_count: 0
    .symbol:         _ZL18rocblas_ger_kernelILi32ELi32ELi2ELb1E19rocblas_complex_numIfEPKS1_PKS3_PKPS1_EviiT4_lT5_lllSA_lllT6_lmli.kd
    .uniform_work_group_size: 1
    .uses_dynamic_stack: false
    .vgpr_count:     13
    .vgpr_spill_count: 0
    .wavefront_size: 32
    .workgroup_processor_mode: 1
  - .args:
      - .offset:         0
        .size:           4
        .value_kind:     by_value
      - .offset:         4
        .size:           4
        .value_kind:     by_value
      - .offset:         8
        .size:           8
        .value_kind:     by_value
      - .offset:         16
        .size:           8
        .value_kind:     by_value
      - .actual_access:  read_only
        .address_space:  global
        .offset:         24
        .size:           8
        .value_kind:     global_buffer
      - .offset:         32
        .size:           8
        .value_kind:     by_value
      - .offset:         40
        .size:           8
        .value_kind:     by_value
      - .offset:         48
        .size:           8
        .value_kind:     by_value
      - .actual_access:  read_only
        .address_space:  global
        .offset:         56
        .size:           8
        .value_kind:     global_buffer
      - .offset:         64
        .size:           8
        .value_kind:     by_value
      - .offset:         72
        .size:           8
        .value_kind:     by_value
      - .offset:         80
        .size:           8
        .value_kind:     by_value
      - .actual_access:  read_only
        .address_space:  global
        .offset:         88
        .size:           8
        .value_kind:     global_buffer
      - .offset:         96
        .size:           8
        .value_kind:     by_value
      - .offset:         104
        .size:           8
        .value_kind:     by_value
      - .offset:         112
        .size:           8
        .value_kind:     by_value
      - .offset:         120
        .size:           4
        .value_kind:     by_value
    .group_segment_fixed_size: 768
    .kernarg_segment_align: 8
    .kernarg_segment_size: 124
    .language:       OpenCL C
    .language_version:
      - 2
      - 0
    .max_flat_workgroup_size: 1024
    .name:           _ZL18rocblas_ger_kernelILi32ELi32ELi2ELb1E19rocblas_complex_numIfES1_PKPKS1_PKPS1_EviiT4_lT5_lllSA_lllT6_lmli
    .private_segment_fixed_size: 0
    .sgpr_count:     24
    .sgpr_spill_count: 0
    .symbol:         _ZL18rocblas_ger_kernelILi32ELi32ELi2ELb1E19rocblas_complex_numIfES1_PKPKS1_PKPS1_EviiT4_lT5_lllSA_lllT6_lmli.kd
    .uniform_work_group_size: 1
    .uses_dynamic_stack: false
    .vgpr_count:     13
    .vgpr_spill_count: 0
    .wavefront_size: 32
    .workgroup_processor_mode: 1
  - .args:
      - .offset:         0
        .size:           1
        .value_kind:     by_value
      - .offset:         4
        .size:           4
        .value_kind:     by_value
      - .offset:         8
        .size:           4
        .value_kind:     by_value
      - .offset:         16
        .size:           16
        .value_kind:     by_value
      - .offset:         32
        .size:           8
        .value_kind:     by_value
      - .actual_access:  read_only
        .address_space:  global
        .offset:         40
        .size:           8
        .value_kind:     global_buffer
      - .offset:         48
        .size:           8
        .value_kind:     by_value
      - .offset:         56
        .size:           8
        .value_kind:     by_value
      - .offset:         64
        .size:           8
        .value_kind:     by_value
      - .actual_access:  read_only
        .address_space:  global
        .offset:         72
        .size:           8
        .value_kind:     global_buffer
      - .offset:         80
        .size:           8
        .value_kind:     by_value
      - .offset:         88
        .size:           8
        .value_kind:     by_value
      - .offset:         96
        .size:           8
        .value_kind:     by_value
      - .actual_access:  read_only
        .address_space:  global
        .offset:         104
        .size:           8
        .value_kind:     global_buffer
      - .offset:         112
        .size:           8
        .value_kind:     by_value
      - .offset:         120
        .size:           8
        .value_kind:     by_value
      - .offset:         128
        .size:           8
        .value_kind:     by_value
      - .offset:         136
        .size:           4
        .value_kind:     by_value
    .group_segment_fixed_size: 0
    .kernarg_segment_align: 8
    .kernarg_segment_size: 140
    .language:       OpenCL C
    .language_version:
      - 2
      - 0
    .max_flat_workgroup_size: 1024
    .name:           _ZL34rocblas_ger_double_buffered_kernelILb1ELi64ELi16ELi2E19rocblas_complex_numIdE24rocblas_internal_val_ptrIS1_EPKPKS1_PKPS1_EvbiiT4_lT5_lllSC_lllT6_lmli
    .private_segment_fixed_size: 0
    .sgpr_count:     26
    .sgpr_spill_count: 0
    .symbol:         _ZL34rocblas_ger_double_buffered_kernelILb1ELi64ELi16ELi2E19rocblas_complex_numIdE24rocblas_internal_val_ptrIS1_EPKPKS1_PKPS1_EvbiiT4_lT5_lllSC_lllT6_lmli.kd
    .uniform_work_group_size: 1
    .uses_dynamic_stack: false
    .vgpr_count:     49
    .vgpr_spill_count: 0
    .wavefront_size: 32
    .workgroup_processor_mode: 1
  - .args:
      - .offset:         0
        .size:           4
        .value_kind:     by_value
      - .offset:         4
        .size:           4
        .value_kind:     by_value
      - .address_space:  global
        .offset:         8
        .size:           8
        .value_kind:     global_buffer
      - .offset:         16
        .size:           8
        .value_kind:     by_value
      - .actual_access:  read_only
        .address_space:  global
        .offset:         24
        .size:           8
        .value_kind:     global_buffer
      - .offset:         32
        .size:           8
        .value_kind:     by_value
      - .offset:         40
        .size:           8
        .value_kind:     by_value
      - .offset:         48
        .size:           8
        .value_kind:     by_value
      - .actual_access:  read_only
        .address_space:  global
        .offset:         56
        .size:           8
        .value_kind:     global_buffer
      - .offset:         64
        .size:           8
        .value_kind:     by_value
      - .offset:         72
        .size:           8
        .value_kind:     by_value
      - .offset:         80
        .size:           8
        .value_kind:     by_value
      - .actual_access:  read_only
        .address_space:  global
        .offset:         88
        .size:           8
        .value_kind:     global_buffer
      - .offset:         96
        .size:           8
        .value_kind:     by_value
      - .offset:         104
        .size:           8
        .value_kind:     by_value
      - .offset:         112
        .size:           8
        .value_kind:     by_value
      - .offset:         120
        .size:           4
        .value_kind:     by_value
    .group_segment_fixed_size: 1536
    .kernarg_segment_align: 8
    .kernarg_segment_size: 124
    .language:       OpenCL C
    .language_version:
      - 2
      - 0
    .max_flat_workgroup_size: 1024
    .name:           _ZL18rocblas_ger_kernelILi32ELi32ELi2ELb1E19rocblas_complex_numIdEPKS1_PKS3_PKPS1_EviiT4_lT5_lllSA_lllT6_lmli
    .private_segment_fixed_size: 0
    .sgpr_count:     26
    .sgpr_spill_count: 0
    .symbol:         _ZL18rocblas_ger_kernelILi32ELi32ELi2ELb1E19rocblas_complex_numIdEPKS1_PKS3_PKPS1_EviiT4_lT5_lllSA_lllT6_lmli.kd
    .uniform_work_group_size: 1
    .uses_dynamic_stack: false
    .vgpr_count:     21
    .vgpr_spill_count: 0
    .wavefront_size: 32
    .workgroup_processor_mode: 1
  - .args:
      - .offset:         0
        .size:           4
        .value_kind:     by_value
      - .offset:         4
        .size:           4
        .value_kind:     by_value
      - .offset:         8
        .size:           16
        .value_kind:     by_value
      - .offset:         24
        .size:           8
        .value_kind:     by_value
      - .actual_access:  read_only
        .address_space:  global
        .offset:         32
        .size:           8
        .value_kind:     global_buffer
      - .offset:         40
        .size:           8
        .value_kind:     by_value
      - .offset:         48
        .size:           8
        .value_kind:     by_value
      - .offset:         56
        .size:           8
        .value_kind:     by_value
      - .actual_access:  read_only
        .address_space:  global
        .offset:         64
        .size:           8
        .value_kind:     global_buffer
      - .offset:         72
        .size:           8
        .value_kind:     by_value
      - .offset:         80
        .size:           8
        .value_kind:     by_value
      - .offset:         88
        .size:           8
        .value_kind:     by_value
      - .actual_access:  read_only
        .address_space:  global
        .offset:         96
        .size:           8
        .value_kind:     global_buffer
      - .offset:         104
        .size:           8
        .value_kind:     by_value
      - .offset:         112
        .size:           8
        .value_kind:     by_value
      - .offset:         120
        .size:           8
        .value_kind:     by_value
      - .offset:         128
        .size:           4
        .value_kind:     by_value
    .group_segment_fixed_size: 1536
    .kernarg_segment_align: 8
    .kernarg_segment_size: 132
    .language:       OpenCL C
    .language_version:
      - 2
      - 0
    .max_flat_workgroup_size: 1024
    .name:           _ZL18rocblas_ger_kernelILi32ELi32ELi2ELb1E19rocblas_complex_numIdES1_PKPKS1_PKPS1_EviiT4_lT5_lllSA_lllT6_lmli
    .private_segment_fixed_size: 0
    .sgpr_count:     26
    .sgpr_spill_count: 0
    .symbol:         _ZL18rocblas_ger_kernelILi32ELi32ELi2ELb1E19rocblas_complex_numIdES1_PKPKS1_PKPS1_EviiT4_lT5_lllSA_lllT6_lmli.kd
    .uniform_work_group_size: 1
    .uses_dynamic_stack: false
    .vgpr_count:     21
    .vgpr_spill_count: 0
    .wavefront_size: 32
    .workgroup_processor_mode: 1
amdhsa.target:   amdgcn-amd-amdhsa--gfx1100
amdhsa.version:
  - 1
  - 2
...

	.end_amdgpu_metadata
